;; amdgpu-corpus repo=ROCm/aiter kind=harvested arch=n/a opt=n/a

/root/src/amdgpu-assembly/repos/ROCm__aiter/hsa/gfx950/fmoe/silu/fmoe_fp16_pertokenInt8_g1u0_vs_silu_1tg_ps_32x384.co:	file format elf64-amdgpu

Disassembly of section .text:

0000000000002e00 <_ZN5aiter49fmoe_fp16_pertokenInt8_g1u0_vs_silu_1tg_ps_32x384E>:
	v_lshrrev_b32_e32 v1, 10, v0                               // 000000002E00: 2002008A
	v_lshrrev_b32_e32 v2, 10, v1                               // 000000002E04: 2004028A
	v_and_b32_e32 v2, 0x3ff, v2                                // 000000002E08: 260404FF 000003FF
	v_and_b32_e32 v1, 0x3ff, v1                                // 000000002E10: 260202FF 000003FF
	v_and_b32_e32 v0, 0x3ff, v0                                // 000000002E18: 260000FF 000003FF
	v_lshrrev_b32_e32 v3, 6, v0                                // 000000002E20: 20060086
	v_and_b32_e32 v0, 63, v0                                   // 000000002E24: 260000BF
	s_mov_b32 s2, s2                                           // 000000002E28: BE820002
	s_mov_b32 s3, s3                                           // 000000002E2C: BE830003
	s_mov_b32 s4, s4                                           // 000000002E30: BE840004
	s_mov_b32 s99, s2                                          // 000000002E34: BEE30002
	v_readfirstlane_b32 s7, v3                                 // 000000002E38: 7E0E0503
	s_and_b32 s1, s1, 0xffff                                   // 000000002E3C: 8601FF01 0000FFFF
	s_mov_b32 s96, 0                                           // 000000002E44: BEE00080
	s_mov_b32 s97, 0                                           // 000000002E48: BEE10080
	s_mov_b32 s100, 0                                          // 000000002E4C: BEE40080
	s_load_dword s96, s[0:1], 0x1a0                            // 000000002E50: C0021800 000001A0
	s_load_dword s97, s[0:1], 0x1b0                            // 000000002E58: C0021840 000001B0
	s_waitcnt lgkmcnt(0)                                       // 000000002E60: BF8CC07F
	s_cmp_eq_u32 s96, 0                                        // 000000002E64: BF068060
	s_cbranch_scc1 label_005C                                  // 000000002E68: BF850041
	v_cvt_f32_u32_e32 v48, s97                                 // 000000002E6C: 7E600C61
	s_sub_i32 s60, 0, s97                                      // 000000002E70: 81BC6180
	v_rcp_iflag_f32_e32 v48, v48                               // 000000002E74: 7E604730
	s_nop 0                                                    // 000000002E78: BF800000
	v_mul_f32_e32 v48, 0x4f7ffffe, v48                         // 000000002E7C: 0A6060FF 4F7FFFFE
	v_cvt_u32_f32_e32 v48, v48                                 // 000000002E84: 7E600F30
	v_mul_lo_u32 v49, s60, v48                                 // 000000002E88: D2850031 0002603C
	v_mul_hi_u32 v49, v48, v49                                 // 000000002E90: D2860031 00026330
	v_add_u32_e32 v48, v48, v49                                // 000000002E98: 68606330
	v_mul_hi_u32 v48, s96, v48                                 // 000000002E9C: D2860030 00026060
	v_mul_lo_u32 v49, v48, s97                                 // 000000002EA4: D2850031 0000C330
	v_sub_u32_e32 v51, s96, v49                                // 000000002EAC: 6A666260
	v_add_u32_e32 v50, 1, v48                                  // 000000002EB0: 68646081
	v_cmp_le_u32_e32 vcc, s97, v51                             // 000000002EB4: 7D966661
	v_subrev_u32_e32 v49, s97, v51                             // 000000002EB8: 6C626661
	s_nop 0                                                    // 000000002EBC: BF800000
	v_cndmask_b32_e32 v48, v48, v50, vcc                       // 000000002EC0: 00606530
	v_cndmask_b32_e32 v51, v51, v49, vcc                       // 000000002EC4: 00666333
	v_add_u32_e32 v49, 1, v48                                  // 000000002EC8: 68626081
	v_cmp_le_u32_e32 vcc, s97, v51                             // 000000002ECC: 7D966661
	s_nop 1                                                    // 000000002ED0: BF800001
	v_cndmask_b32_e32 v51, v48, v49, vcc                       // 000000002ED4: 00666330
	s_nop 3                                                    // 000000002ED8: BF800003
	v_readfirstlane_b32 s98, v51                               // 000000002EDC: 7EC40533
	s_nop 3                                                    // 000000002EE0: BF800003

0000000000002ee4 <label_0039>:
	s_mov_b32 s4, 0                                            // 000000002EE4: BE840080
	v_cvt_f32_u32_e32 v48, s97                                 // 000000002EE8: 7E600C61
	s_sub_i32 s60, 0, s97                                      // 000000002EEC: 81BC6180
	v_rcp_iflag_f32_e32 v48, v48                               // 000000002EF0: 7E604730
	s_nop 0                                                    // 000000002EF4: BF800000
	v_mul_f32_e32 v48, 0x4f7ffffe, v48                         // 000000002EF8: 0A6060FF 4F7FFFFE
	v_cvt_u32_f32_e32 v48, v48                                 // 000000002F00: 7E600F30
	v_mul_lo_u32 v49, s60, v48                                 // 000000002F04: D2850031 0002603C
	v_mul_hi_u32 v49, v48, v49                                 // 000000002F0C: D2860031 00026330
	v_add_u32_e32 v48, v48, v49                                // 000000002F14: 68606330
	v_mul_hi_u32 v48, s99, v48                                 // 000000002F18: D2860030 00026063
	v_mul_lo_u32 v49, v48, s97                                 // 000000002F20: D2850031 0000C330
	v_sub_u32_e32 v51, s99, v49                                // 000000002F28: 6A666263
	v_add_u32_e32 v50, 1, v48                                  // 000000002F2C: 68646081
	v_cmp_le_u32_e32 vcc, s97, v51                             // 000000002F30: 7D966661
	v_subrev_u32_e32 v49, s97, v51                             // 000000002F34: 6C626661
	s_nop 0                                                    // 000000002F38: BF800000
	v_cndmask_b32_e32 v48, v48, v50, vcc                       // 000000002F3C: 00606530
	v_cndmask_b32_e32 v51, v51, v49, vcc                       // 000000002F40: 00666333
	v_add_u32_e32 v49, 1, v48                                  // 000000002F44: 68626081
	v_cmp_le_u32_e32 vcc, s97, v51                             // 000000002F48: 7D966661
	s_nop 1                                                    // 000000002F4C: BF800001
	v_cndmask_b32_e32 v51, v48, v49, vcc                       // 000000002F50: 00666330
	s_nop 3                                                    // 000000002F54: BF800003
	v_readfirstlane_b32 s3, v51                                // 000000002F58: 7E060533
	s_nop 3                                                    // 000000002F5C: BF800003
	s_mul_i32 s60, s3, s97                                     // 000000002F60: 923C6103
	s_sub_u32 s2, s99, s60                                     // 000000002F64: 80823C63
	s_mul_i32 s60, s98, s100                                   // 000000002F68: 923C6462
	s_add_i32 s3, s3, s60                                      // 000000002F6C: 81033C03

0000000000002f70 <label_005C>:
	s_and_b32 s1, s1, 0xffff                                   // 000000002F70: 8601FF01 0000FFFF
	s_load_dwordx2 s[8:9], s[0:1], 0x0                         // 000000002F78: C0060200 00000000
	s_load_dwordx2 s[20:21], s[0:1], 0x10                      // 000000002F80: C0060500 00000010
	s_load_dwordx2 s[24:25], s[0:1], 0x20                      // 000000002F88: C0060600 00000020
	s_load_dwordx2 s[50:51], s[0:1], 0x30                      // 000000002F90: C0060C80 00000030
	s_load_dwordx2 s[12:13], s[0:1], 0x40                      // 000000002F98: C0060300 00000040
	s_load_dwordx2 s[28:29], s[0:1], 0x50                      // 000000002FA0: C0060700 00000050
	s_load_dwordx2 s[32:33], s[0:1], 0x60                      // 000000002FA8: C0060800 00000060
	s_load_dwordx2 s[16:17], s[0:1], 0x70                      // 000000002FB0: C0060400 00000070
	s_load_dwordx2 s[36:37], s[0:1], 0x80                      // 000000002FB8: C0060900 00000080
	s_load_dwordx2 s[44:45], s[0:1], 0x90                      // 000000002FC0: C0060B00 00000090
	s_load_dwordx2 s[40:41], s[0:1], 0xa0                      // 000000002FC8: C0060A00 000000A0
	s_load_dwordx2 s[46:47], s[0:1], 0xb0                      // 000000002FD0: C0060B80 000000B0
	s_load_dword s64, s[0:1], 0xc0                             // 000000002FD8: C0021000 000000C0
	s_load_dword s65, s[0:1], 0xd0                             // 000000002FE0: C0021040 000000D0
	s_load_dword s67, s[0:1], 0xf0                             // 000000002FE8: C00210C0 000000F0
	s_load_dword s68, s[0:1], 0x100                            // 000000002FF0: C0021100 00000100
	s_load_dword s69, s[0:1], 0x110                            // 000000002FF8: C0021140 00000110
	s_load_dword s70, s[0:1], 0x120                            // 000000003000: C0021180 00000120
	s_load_dword s71, s[0:1], 0x130                            // 000000003008: C00211C0 00000130
	s_load_dword s72, s[0:1], 0x140                            // 000000003010: C0021200 00000140
	s_load_dword s73, s[0:1], 0x150                            // 000000003018: C0021240 00000150
	s_load_dword s74, s[0:1], 0x160                            // 000000003020: C0021280 00000160
	s_load_dword s75, s[0:1], 0x170                            // 000000003028: C00212C0 00000170
	s_load_dword s76, s[0:1], 0x180                            // 000000003030: C0021300 00000180
	s_load_dword s63, s[0:1], 0x190                            // 000000003038: C0020FC0 00000190
	s_mov_b32 s2, s2                                           // 000000003040: BE820002
	s_mov_b32 s3, s3                                           // 000000003044: BE830003
	s_mov_b32 s4, s4                                           // 000000003048: BE840004
	s_waitcnt lgkmcnt(0)                                       // 00000000304C: BF8CC07F
	s_and_b32 s51, s51, 0xffff                                 // 000000003050: 8633FF33 0000FFFF
	s_load_dword s66, s[50:51], 0x4                            // 000000003058: C0021099 00000004
	s_load_dword s50, s[50:51], 0x0                            // 000000003060: C0020C99 00000000
	s_waitcnt lgkmcnt(0)                                       // 000000003068: BF8CC07F
	s_and_b32 s45, s45, 0xffff                                 // 00000000306C: 862DFF2D 0000FFFF
	s_and_b32 s47, s47, 0xffff                                 // 000000003074: 862FFF2F 0000FFFF
	s_and_b32 s9, s9, 0xffff                                   // 00000000307C: 8609FF09 0000FFFF
	s_mul_i32 s60, s66, s68                                    // 000000003084: 923C4442
	s_mul_i32 s60, s63, s60                                    // 000000003088: 923C3C3F
	s_mul_i32 s61, s66, 4                                      // 00000000308C: 923D8442
	s_mul_i32 s61, s63, s61                                    // 000000003090: 923D3D3F
	s_mov_b32 s22, s60                                         // 000000003094: BE96003C
	s_mov_b32 s26, -16                                         // 000000003098: BE9A00D0
	s_mov_b32 s14, -16                                         // 00000000309C: BE8E00D0
	s_mov_b32 s42, -16                                         // 0000000030A0: BEAA00D0
	s_mov_b32 s30, s61                                         // 0000000030A4: BE9E003D
	s_mov_b32 s34, 0x600                                       // 0000000030A8: BEA200FF 00000600
	s_mov_b32 s38, 0x600                                       // 0000000030B0: BEA600FF 00000600
	s_mov_b32 s18, -16                                         // 0000000030B8: BE9200D0
	s_mov_b32 s23, 0x20000                                     // 0000000030BC: BE9700FF 00020000
	s_mov_b32 s27, 0x20000                                     // 0000000030C4: BE9B00FF 00020000
	s_mov_b32 s15, 0x20000                                     // 0000000030CC: BE8F00FF 00020000
	s_mov_b32 s43, 0x20000                                     // 0000000030D4: BEAB00FF 00020000
	s_mov_b32 s31, 0x20000                                     // 0000000030DC: BE9F00FF 00020000
	s_mov_b32 s35, 0x20000                                     // 0000000030E4: BEA300FF 00020000
	s_mov_b32 s39, 0x20000                                     // 0000000030EC: BEA700FF 00020000
	s_mov_b32 s19, 0x20000                                     // 0000000030F4: BE9300FF 00020000
	s_and_b32 s21, s21, 0xffff                                 // 0000000030FC: 8615FF15 0000FFFF
	s_and_b32 s25, s25, 0xffff                                 // 000000003104: 8619FF19 0000FFFF
	s_and_b32 s13, s13, 0xffff                                 // 00000000310C: 860DFF0D 0000FFFF
	s_and_b32 s41, s41, 0xffff                                 // 000000003114: 8629FF29 0000FFFF
	s_and_b32 s29, s29, 0xffff                                 // 00000000311C: 861DFF1D 0000FFFF
	s_and_b32 s33, s33, 0xffff                                 // 000000003124: 8621FF21 0000FFFF
	s_and_b32 s37, s37, 0xffff                                 // 00000000312C: 8625FF25 0000FFFF
	s_and_b32 s17, s17, 0xffff                                 // 000000003134: 8611FF11 0000FFFF
	s_or_b32 s21, s21, 0x40000                                 // 00000000313C: 8715FF15 00040000
	s_or_b32 s25, s25, 0x40000                                 // 000000003144: 8719FF19 00040000
	s_or_b32 s13, s13, 0x40000                                 // 00000000314C: 870DFF0D 00040000
	s_or_b32 s41, s41, 0x40000                                 // 000000003154: 8729FF29 00040000
	s_or_b32 s29, s29, 0x40000                                 // 00000000315C: 871DFF1D 00040000
	s_or_b32 s33, s33, 0x40000                                 // 000000003164: 8721FF21 00040000
	s_or_b32 s37, s37, 0x40000                                 // 00000000316C: 8725FF25 00040000
	s_or_b32 s17, s17, 0x40000                                 // 000000003174: 8711FF11 00040000
	v_accvgpr_write_b32 a191, 0                                // 00000000317C: D3D940BF 18000080
	v_mov_b32_e32 v239, 0                                      // 000000003184: 7FDE0280
	s_waitcnt lgkmcnt(0)                                       // 000000003188: BF8CC07F
	s_mul_i32 s60, s3, 32                                      // 00000000318C: 923CA003
	s_cmp_lt_i32 s60, s50                                      // 000000003190: BF04323C
	s_cbranch_scc0 label_1971                                  // 000000003194: BF84188B
	s_mov_b32 s80, 0                                           // 000000003198: BED00080
	s_mov_b32 s81, s64                                         // 00000000319C: BED10040
	s_mul_i32 s60, s3, 4                                       // 0000000031A0: 923C8403
	s_add_u32 s46, s60, s46                                    // 0000000031A4: 802E2E3C
	s_addc_u32 s47, 0, s47                                     // 0000000031A8: 822F2F80
	s_load_dword s5, s[46:47], 0x0                             // 0000000031AC: C0020157 00000000
	s_mul_i32 s60, s3, 32                                      // 0000000031B4: 923CA003
	s_mul_i32 s60, 4, s60                                      // 0000000031B8: 923C3C84
	v_and_b32_e32 v48, 15, v0                                  // 0000000031BC: 2660008F
	v_lshlrev_b32_e32 v48, 2, v48                              // 0000000031C0: 24606082
	v_add_u32_e32 v48, s60, v48                                // 0000000031C4: 6860603C
	v_mov_b32_e32 v49, 0                                       // 0000000031C8: 7E620280
	global_load_dword v6, v48, s[44:45]                        // 0000000031CC: DC508000 062C0030
	v_add_u32_e32 v48, 64, v48                                 // 0000000031D4: 686060C0
	global_load_dword v7, v48, s[44:45]                        // 0000000031D8: DC508000 072C0030
	s_mul_i32 s60, s3, 32                                      // 0000000031E0: 923CA003
	s_add_u32 s60, s7, s60                                     // 0000000031E4: 803C3C07
	s_mul_i32 s60, 4, s60                                      // 0000000031E8: 923C3C84
	s_add_u32 s44, s60, s44                                    // 0000000031EC: 802C2C3C
	s_addc_u32 s45, 0, s45                                     // 0000000031F0: 822D2D80
	s_load_dword s82, s[44:45], 0x0                            // 0000000031F4: C0021496 00000000
	s_load_dword s83, s[44:45], 0x10                           // 0000000031FC: C00214D6 00000010
	s_load_dword s84, s[44:45], 0x20                           // 000000003204: C0021516 00000020
	s_load_dword s85, s[44:45], 0x30                           // 00000000320C: C0021556 00000030
	s_load_dword s86, s[44:45], 0x40                           // 000000003214: C0021596 00000040
	s_load_dword s87, s[44:45], 0x50                           // 00000000321C: C00215D6 00000050
	s_load_dword s88, s[44:45], 0x60                           // 000000003224: C0021616 00000060
	s_load_dword s89, s[44:45], 0x70                           // 00000000322C: C0021656 00000070
	s_waitcnt lgkmcnt(0)                                       // 000000003234: BF8CC07F
	v_lshlrev_b32_e32 v48, 2, v0                               // 000000003238: 24600082
	s_lshr_b32 s61, s82, 24                                    // 00000000323C: 8F3D9852
	s_mul_i32 s61, s61, s68                                    // 000000003240: 923D443D
	s_mul_i32 s61, s61, s66                                    // 000000003244: 923D423D
	s_and_b32 s82, s82, 0xffffff                               // 000000003248: 8652FF52 00FFFFFF
	s_mul_i32 s60, s82, s68                                    // 000000003250: 923C4452
	s_add_u32 s60, s61, s60                                    // 000000003254: 803C3C3D
	v_add_u32_e64 v26, v48, s60                                // 000000003258: D134001A 00007930
	s_lshr_b32 s61, s83, 24                                    // 000000003260: 8F3D9853
	s_mul_i32 s61, s61, s68                                    // 000000003264: 923D443D
	s_mul_i32 s61, s61, s66                                    // 000000003268: 923D423D
	s_and_b32 s83, s83, 0xffffff                               // 00000000326C: 8653FF53 00FFFFFF
	s_mul_i32 s60, s83, s68                                    // 000000003274: 923C4453
	s_add_u32 s60, s61, s60                                    // 000000003278: 803C3C3D
	v_add_u32_e64 v27, v48, s60                                // 00000000327C: D134001B 00007930
	s_lshr_b32 s61, s84, 24                                    // 000000003284: 8F3D9854
	s_mul_i32 s61, s61, s68                                    // 000000003288: 923D443D
	s_mul_i32 s61, s61, s66                                    // 00000000328C: 923D423D
	s_and_b32 s84, s84, 0xffffff                               // 000000003290: 8654FF54 00FFFFFF
	s_mul_i32 s60, s84, s68                                    // 000000003298: 923C4454
	s_add_u32 s60, s61, s60                                    // 00000000329C: 803C3C3D
	v_add_u32_e64 v28, v48, s60                                // 0000000032A0: D134001C 00007930
	s_lshr_b32 s61, s85, 24                                    // 0000000032A8: 8F3D9855
	s_mul_i32 s61, s61, s68                                    // 0000000032AC: 923D443D
	s_mul_i32 s61, s61, s66                                    // 0000000032B0: 923D423D
	s_and_b32 s85, s85, 0xffffff                               // 0000000032B4: 8655FF55 00FFFFFF
	s_mul_i32 s60, s85, s68                                    // 0000000032BC: 923C4455
	s_add_u32 s60, s61, s60                                    // 0000000032C0: 803C3C3D
	v_add_u32_e64 v29, v48, s60                                // 0000000032C4: D134001D 00007930
	s_lshr_b32 s61, s86, 24                                    // 0000000032CC: 8F3D9856
	s_mul_i32 s61, s61, s68                                    // 0000000032D0: 923D443D
	s_mul_i32 s61, s61, s66                                    // 0000000032D4: 923D423D
	s_and_b32 s86, s86, 0xffffff                               // 0000000032D8: 8656FF56 00FFFFFF
	s_mul_i32 s60, s86, s68                                    // 0000000032E0: 923C4456
	s_add_u32 s60, s61, s60                                    // 0000000032E4: 803C3C3D
	v_add_u32_e64 v30, v48, s60                                // 0000000032E8: D134001E 00007930
	s_lshr_b32 s61, s87, 24                                    // 0000000032F0: 8F3D9857
	s_mul_i32 s61, s61, s68                                    // 0000000032F4: 923D443D
	s_mul_i32 s61, s61, s66                                    // 0000000032F8: 923D423D
	s_and_b32 s87, s87, 0xffffff                               // 0000000032FC: 8657FF57 00FFFFFF
	s_mul_i32 s60, s87, s68                                    // 000000003304: 923C4457
	s_add_u32 s60, s61, s60                                    // 000000003308: 803C3C3D
	v_add_u32_e64 v31, v48, s60                                // 00000000330C: D134001F 00007930
	s_lshr_b32 s61, s88, 24                                    // 000000003314: 8F3D9858
	s_mul_i32 s61, s61, s68                                    // 000000003318: 923D443D
	s_mul_i32 s61, s61, s66                                    // 00000000331C: 923D423D
	s_and_b32 s88, s88, 0xffffff                               // 000000003320: 8658FF58 00FFFFFF
	s_mul_i32 s60, s88, s68                                    // 000000003328: 923C4458
	s_add_u32 s60, s61, s60                                    // 00000000332C: 803C3C3D
	v_add_u32_e64 v32, v48, s60                                // 000000003330: D1340020 00007930
	s_lshr_b32 s61, s89, 24                                    // 000000003338: 8F3D9859
	s_mul_i32 s61, s61, s68                                    // 00000000333C: 923D443D
	s_mul_i32 s61, s61, s66                                    // 000000003340: 923D423D
	s_and_b32 s89, s89, 0xffffff                               // 000000003344: 8659FF59 00FFFFFF
	s_mul_i32 s60, s89, s68                                    // 00000000334C: 923C4459
	s_add_u32 s60, s61, s60                                    // 000000003350: 803C3C3D
	v_add_u32_e64 v33, v48, s60                                // 000000003354: D1340021 00007930
	v_lshlrev_b32_e32 v48, 2, v0                               // 00000000335C: 24600082
	s_mul_i32 s60, s82, s71                                    // 000000003360: 923C4752
	v_add_u32_e64 v80, v48, s60                                // 000000003364: D1340050 00007930
	v_mov_b32_e32 v81, 0                                       // 00000000336C: 7EA20280
	s_mul_i32 s60, s83, s71                                    // 000000003370: 923C4753
	v_add_u32_e64 v82, v48, s60                                // 000000003374: D1340052 00007930
	v_mov_b32_e32 v83, 0                                       // 00000000337C: 7EA60280
	s_mul_i32 s60, s84, s71                                    // 000000003380: 923C4754
	v_add_u32_e64 v84, v48, s60                                // 000000003384: D1340054 00007930
	v_mov_b32_e32 v85, 0                                       // 00000000338C: 7EAA0280
	s_mul_i32 s60, s85, s71                                    // 000000003390: 923C4755
	v_add_u32_e64 v86, v48, s60                                // 000000003394: D1340056 00007930
	v_mov_b32_e32 v87, 0                                       // 00000000339C: 7EAE0280
	s_mul_i32 s60, s86, s71                                    // 0000000033A0: 923C4756
	v_add_u32_e64 v88, v48, s60                                // 0000000033A4: D1340058 00007930
	v_mov_b32_e32 v89, 0                                       // 0000000033AC: 7EB20280
	s_mul_i32 s60, s87, s71                                    // 0000000033B0: 923C4757
	v_add_u32_e64 v90, v48, s60                                // 0000000033B4: D134005A 00007930
	v_mov_b32_e32 v91, 0                                       // 0000000033BC: 7EB60280
	s_mul_i32 s60, s88, s71                                    // 0000000033C0: 923C4758
	v_add_u32_e64 v92, v48, s60                                // 0000000033C4: D134005C 00007930
	v_mov_b32_e32 v93, 0                                       // 0000000033CC: 7EBA0280
	s_mul_i32 s60, s89, s71                                    // 0000000033D0: 923C4759
	v_add_u32_e64 v94, v48, s60                                // 0000000033D4: D134005E 00007930
	v_mov_b32_e32 v95, 0                                       // 0000000033DC: 7EBE0280
	s_mul_i32 s60, s7, 0x820                                   // 0000000033E0: 923CFF07 00000820
	s_add_u32 s50, 0, s60                                      // 0000000033E8: 80323C80
	s_add_u32 s51, 0x2080, s50                                 // 0000000033EC: 803332FF 00002080
	v_lshrrev_b32_e32 v48, 4, v0                               // 0000000033F4: 20600084
	v_lshlrev_b32_e32 v49, 2, v48                              // 0000000033F8: 24626082
	v_and_b32_e32 v48, 15, v0                                  // 0000000033FC: 2660008F
	v_lshrrev_b32_e32 v50, 2, v48                              // 000000003400: 20646082
	v_lshlrev_b32_e32 v50, 6, v50                              // 000000003404: 24646486
	v_add_u32_e32 v49, v50, v49                                // 000000003408: 68626332
	v_and_b32_e32 v48, 3, v0                                   // 00000000340C: 26600083
	v_mul_i32_i24_e32 v50, 0x208, v48                          // 000000003410: 0C6460FF 00000208
	v_add_u32_e32 v49, v50, v49                                // 000000003418: 68626332
	v_lshlrev_b32_e32 v2, 2, v49                               // 00000000341C: 24046282
	s_mul_i32 s60, s2, 0x180                                   // 000000003420: 923CFF02 00000180
	s_mul_i32 s60, s60, s69                                    // 000000003428: 923C453C
	s_mul_i32 s61, s5, s72                                     // 00000000342C: 923D4805
	s_add_u32 s60, s61, s60                                    // 000000003430: 803C3C3D
	s_add_u32 s24, s60, s24                                    // 000000003434: 8018183C
	s_addc_u32 s25, 0, s25                                     // 000000003438: 82191980
	s_mul_i32 s60, s7, 16                                      // 00000000343C: 923C9007
	s_mul_i32 s60, s60, s69                                    // 000000003440: 923C453C
	v_lshlrev_b32_e32 v34, 4, v0                               // 000000003444: 24440084
	v_add_u32_e32 v34, s60, v34                                // 000000003448: 6844443C
	s_mul_i32 s60, 64, s69                                     // 00000000344C: 923C45C0
	v_add_u32_e32 v35, s60, v34                                // 000000003450: 6846443C
	v_add_u32_e32 v36, s60, v35                                // 000000003454: 6848463C
	v_add_u32_e32 v37, s60, v36                                // 000000003458: 684A483C
	v_add_u32_e32 v38, s60, v37                                // 00000000345C: 684C4A3C
	v_add_u32_e32 v39, s60, v38                                // 000000003460: 684E4C3C
	s_mul_i32 s60, s2, 0x1800                                  // 000000003464: 923CFF02 00001800
	s_mul_i32 s61, s5, s73                                     // 00000000346C: 923D4905
	s_add_u32 s60, s61, s60                                    // 000000003470: 803C3C3D
	s_add_u32 s12, s60, s12                                    // 000000003474: 800C0C3C
	s_addc_u32 s13, 0, s13                                     // 000000003478: 820D0D80
	s_mul_i32 s60, s7, 16                                      // 00000000347C: 923C9007
	s_mul_i32 s60, s60, s70                                    // 000000003480: 923C463C
	v_lshlrev_b32_e32 v40, 4, v0                               // 000000003484: 24500084
	v_add_u32_e32 v40, s60, v40                                // 000000003488: 6850503C
	s_mul_i32 s60, 64, s70                                     // 00000000348C: 923C46C0
	v_add_u32_e32 v41, s60, v40                                // 000000003490: 6852503C
	v_add_u32_e32 v42, s60, v41                                // 000000003494: 6854523C
	v_add_u32_e32 v43, s60, v42                                // 000000003498: 6856543C
	s_mul_i32 s60, s3, 32                                      // 00000000349C: 923CA003
	s_mul_i32 s60, 4, s60                                      // 0000000034A0: 923C3C84
	s_add_u32 s40, s60, s40                                    // 0000000034A4: 8028283C
	s_addc_u32 s41, 0, s41                                     // 0000000034A8: 82292980
	v_and_b32_e32 v48, 15, v0                                  // 0000000034AC: 2660008F
	v_lshlrev_b32_e32 v8, 2, v48                               // 0000000034B0: 24106082
	v_add_u32_e32 v9, 64, v8                                   // 0000000034B4: 681210C0
	v_lshrrev_b32_e32 v48, 4, v0                               // 0000000034B8: 20600084
	v_lshlrev_b32_e32 v49, 2, v48                              // 0000000034BC: 24626082
	v_and_b32_e32 v48, 15, v0                                  // 0000000034C0: 2660008F
	v_lshrrev_b32_e32 v50, 2, v48                              // 0000000034C4: 20646082
	v_lshlrev_b32_e32 v50, 6, v50                              // 0000000034C8: 24646486
	v_add_u32_e32 v49, v50, v49                                // 0000000034CC: 68626332
	v_and_b32_e32 v48, 3, v0                                   // 0000000034D0: 26600083
	v_add_u32_e32 v49, v48, v49                                // 0000000034D4: 68626330
	v_lshlrev_b32_e32 v10, 2, v49                              // 0000000034D8: 24146282
	v_add_u32_e32 v11, 0x400, v10                              // 0000000034DC: 681614FF 00000400
	s_mul_i32 s60, s7, 16                                      // 0000000034E4: 923C9007
	s_mul_i32 s60, s60, 4                                      // 0000000034E8: 923C843C
	v_add_u32_e32 v10, s60, v10                                // 0000000034EC: 6814143C
	v_add_u32_e32 v11, s60, v11                                // 0000000034F0: 6816163C
	v_mov_b32_e32 v5, v10                                      // 0000000034F4: 7E0A030A
	s_mul_i32 s60, s2, 0x180                                   // 0000000034F8: 923CFF02 00000180
	s_mul_i32 s60, s60, 4                                      // 000000003500: 923C843C
	s_mul_i32 s61, s5, s74                                     // 000000003504: 923D4A05
	s_add_u32 s61, s61, s60                                    // 000000003508: 803D3C3D
	s_mul_i32 s62, s5, s76                                     // 00000000350C: 923E4C05
	s_add_u32 s62, s62, s60                                    // 000000003510: 803E3C3E
	s_add_u32 s32, s61, s32                                    // 000000003514: 8020203D
	s_addc_u32 s33, 0, s33                                     // 000000003518: 82212180
	s_add_u32 s36, s62, s36                                    // 00000000351C: 8024243E
	s_addc_u32 s37, 0, s37                                     // 000000003520: 82252580
	s_mul_i32 s60, s5, s75                                     // 000000003524: 923C4B05
	s_add_u32 s16, s60, s16                                    // 000000003528: 8010103C
	s_addc_u32 s17, 0, s17                                     // 00000000352C: 82111180
	s_mov_b32 s57, 0x100                                       // 000000003530: BEB900FF 00000100
	s_mov_b32 s58, 0x1000                                      // 000000003538: BEBA00FF 00001000
	s_mov_b32 s79, 0x400                                       // 000000003540: BECF00FF 00000400
	s_mov_b32 s59, 0x200                                       // 000000003548: BEBB00FF 00000200
	s_mul_i32 s60, s70, 0x100                                  // 000000003550: 923CFF46 00000100
	s_mov_b32 s78, 0x400                                       // 000000003558: BECE00FF 00000400
	s_mul_i32 s61, s78, 5                                      // 000000003560: 923D854E
	s_sub_u32 s56, s60, s61                                    // 000000003564: 80B83D3C
	s_mov_b32 s52, 0x7060302                                   // 000000003568: BEB400FF 07060302
	s_mov_b32 s53, 0x400                                       // 000000003570: BEB500FF 00000400
	s_mov_b32 s54, 0x40100                                     // 000000003578: BEB600FF 00040100
	s_mov_b32 s55, 0x4020100                                   // 000000003580: BEB700FF 04020100
	s_mov_b32 s6, 0x3fb8aa3b                                   // 000000003588: BE8600FF 3FB8AA3B
	s_mov_b32 s77, 0xbd92220c                                  // 000000003590: BECD00FF BD92220C
	s_mov_b32 m0, s50                                          // 000000003598: BEFC0032
	v_mov_b32_e32 v1, 0xbfcc4231                               // 00000000359C: 7E0202FF BFCC4231
	v_mov_b32_e32 v45, 0xffff0000                              // 0000000035A4: 7E5A02FF FFFF0000
	v_mov_b32_e32 v46, 0x7fff0000                              // 0000000035AC: 7E5C02FF 7FFF0000
	v_mov_b32_e32 v47, 0x7fff                                  // 0000000035B4: 7E5E02FF 00007FFF
	s_waitcnt vmcnt(0) expcnt(0) lgkmcnt(0)                    // 0000000035BC: BF8C0000
	v_lshrrev_b32_e32 v48, 24, v6                              // 0000000035C0: 20600C98
	v_mul_i32_i24_e32 v48, s66, v48                            // 0000000035C4: 0C606042
	v_and_b32_e32 v49, 0xffffff, v6                            // 0000000035C8: 26620CFF 00FFFFFF
	v_add_u32_e32 v6, v48, v49                                 // 0000000035D0: 680C6330
	v_lshrrev_b32_e32 v48, 24, v7                              // 0000000035D4: 20600E98
	v_mul_i32_i24_e32 v48, s66, v48                            // 0000000035D8: 0C606042
	v_and_b32_e32 v49, 0xffffff, v7                            // 0000000035DC: 26620EFF 00FFFFFF
	v_add_u32_e32 v7, v48, v49                                 // 0000000035E4: 680E6330
	v_lshlrev_b32_e32 v6, 2, v6                                // 0000000035E8: 240C0C82
	v_lshlrev_b32_e32 v7, 2, v7                                // 0000000035EC: 240E0E82
	buffer_load_dword v14, v6, s[28:31], 0 offen               // 0000000035F0: E0501000 80070E06
	buffer_load_dword v15, v7, s[28:31], 0 offen               // 0000000035F8: E0501000 80070F07
	buffer_load_dword v16, v10, s[32:35], 0 offen              // 000000003600: E0501000 8008100A
	buffer_load_dword v17, v11, s[32:35], 0 offen              // 000000003608: E0501000 8008110B
	buffer_load_dword v18, v10, s[36:39], 0 offen              // 000000003610: E0501000 8009120A
	buffer_load_dword v19, v11, s[36:39], 0 offen              // 000000003618: E0501000 8009130B
	buffer_load_dword v20, v8, s[40:43], 0 offen               // 000000003620: E0501000 800A1408
	buffer_load_dword v21, v9, s[40:43], 0 offen               // 000000003628: E0501000 800A1509
	buffer_load_dword v26, s[20:23], 0 offen lds               // 000000003630: E0511000 8005001A
	s_add_u32 m0, 0x100, s50                                   // 000000003638: 807C32FF 00000100
	buffer_load_dword v27, s[20:23], 0 offen lds               // 000000003640: E0511000 8005001B
	s_add_u32 m0, 0x200, s50                                   // 000000003648: 807C32FF 00000200
	buffer_load_dword v28, s[20:23], 0 offen lds               // 000000003650: E0511000 8005001C
	s_add_u32 m0, 0x300, s50                                   // 000000003658: 807C32FF 00000300
	buffer_load_dword v29, s[20:23], 0 offen lds               // 000000003660: E0511000 8005001D
	s_add_u32 m0, 0x400, s50                                   // 000000003668: 807C32FF 00000400
	buffer_load_dword v30, s[20:23], 0 offen lds               // 000000003670: E0511000 8005001E
	s_add_u32 m0, 0x500, s50                                   // 000000003678: 807C32FF 00000500
	buffer_load_dword v31, s[20:23], 0 offen lds               // 000000003680: E0511000 8005001F
	s_add_u32 m0, 0x600, s50                                   // 000000003688: 807C32FF 00000600
	buffer_load_dword v32, s[20:23], 0 offen lds               // 000000003690: E0511000 80050020
	s_add_u32 m0, 0x700, s50                                   // 000000003698: 807C32FF 00000700
	buffer_load_dword v33, s[20:23], 0 offen lds               // 0000000036A0: E0511000 80050021
	s_add_u32 m0, 0, s51                                       // 0000000036A8: 807C3380
	s_add_u32 s20, s57, s20                                    // 0000000036AC: 80141439
	s_addc_u32 s21, 0, s21                                     // 0000000036B0: 82151580
	buffer_load_dword v26, s[20:23], 0 offen lds               // 0000000036B4: E0511000 8005001A
	s_add_u32 m0, 0x100, s51                                   // 0000000036BC: 807C33FF 00000100
	buffer_load_dword v27, s[20:23], 0 offen lds               // 0000000036C4: E0511000 8005001B
	s_add_u32 m0, 0x200, s51                                   // 0000000036CC: 807C33FF 00000200
	buffer_load_dword v28, s[20:23], 0 offen lds               // 0000000036D4: E0511000 8005001C
	s_add_u32 m0, 0x300, s51                                   // 0000000036DC: 807C33FF 00000300
	buffer_load_dword v29, s[20:23], 0 offen lds               // 0000000036E4: E0511000 8005001D
	s_add_u32 m0, 0x400, s51                                   // 0000000036EC: 807C33FF 00000400
	buffer_load_dword v30, s[20:23], 0 offen lds               // 0000000036F4: E0511000 8005001E
	s_add_u32 m0, 0x500, s51                                   // 0000000036FC: 807C33FF 00000500
	buffer_load_dword v31, s[20:23], 0 offen lds               // 000000003704: E0511000 8005001F
	s_add_u32 m0, 0x600, s51                                   // 00000000370C: 807C33FF 00000600
	buffer_load_dword v32, s[20:23], 0 offen lds               // 000000003714: E0511000 80050020
	s_add_u32 m0, 0x700, s51                                   // 00000000371C: 807C33FF 00000700
	buffer_load_dword v33, s[20:23], 0 offen lds               // 000000003724: E0511000 80050021
	s_add_u32 m0, 0, s50                                       // 00000000372C: 807C3280
	s_add_u32 s20, s57, s20                                    // 000000003730: 80141439
	s_addc_u32 s21, 0, s21                                     // 000000003734: 82151580
	buffer_load_dwordx4 a[0:3], v34, s[24:27], 0 offen         // 000000003738: E05C1000 80860022
	buffer_load_dwordx4 a[4:7], v34, s[24:27], 0 offen offset:1024// 000000003740: E05C1400 80860422
	buffer_load_dwordx4 a[8:11], v34, s[24:27], 0 offen offset:2048// 000000003748: E05C1800 80860822
	buffer_load_dwordx4 a[12:15], v34, s[24:27], 0 offen offset:3072// 000000003750: E05C1C00 80860C22
	buffer_load_dwordx4 a[16:19], v35, s[24:27], 0 offen       // 000000003758: E05C1000 80861023
	buffer_load_dwordx4 a[20:23], v35, s[24:27], 0 offen offset:1024// 000000003760: E05C1400 80861423
	buffer_load_dwordx4 a[24:27], v35, s[24:27], 0 offen offset:2048// 000000003768: E05C1800 80861823
	buffer_load_dwordx4 a[28:31], v35, s[24:27], 0 offen offset:3072// 000000003770: E05C1C00 80861C23
	buffer_load_dwordx4 a[32:35], v36, s[24:27], 0 offen       // 000000003778: E05C1000 80862024
	buffer_load_dwordx4 a[36:39], v36, s[24:27], 0 offen offset:1024// 000000003780: E05C1400 80862424
	buffer_load_dwordx4 a[40:43], v36, s[24:27], 0 offen offset:2048// 000000003788: E05C1800 80862824
	buffer_load_dwordx4 a[44:47], v36, s[24:27], 0 offen offset:3072// 000000003790: E05C1C00 80862C24
	buffer_load_dwordx4 a[48:51], v37, s[24:27], 0 offen       // 000000003798: E05C1000 80863025
	buffer_load_dwordx4 a[52:55], v37, s[24:27], 0 offen offset:1024// 0000000037A0: E05C1400 80863425
	buffer_load_dwordx4 a[56:59], v37, s[24:27], 0 offen offset:2048// 0000000037A8: E05C1800 80863825
	buffer_load_dwordx4 a[60:63], v37, s[24:27], 0 offen offset:3072// 0000000037B0: E05C1C00 80863C25
	buffer_load_dwordx4 a[64:67], v38, s[24:27], 0 offen       // 0000000037B8: E05C1000 80864026
	buffer_load_dwordx4 a[68:71], v38, s[24:27], 0 offen offset:1024// 0000000037C0: E05C1400 80864426
	buffer_load_dwordx4 a[72:75], v38, s[24:27], 0 offen offset:2048// 0000000037C8: E05C1800 80864826
	buffer_load_dwordx4 a[76:79], v38, s[24:27], 0 offen offset:3072// 0000000037D0: E05C1C00 80864C26
	buffer_load_dwordx4 a[80:83], v39, s[24:27], 0 offen       // 0000000037D8: E05C1000 80865027
	buffer_load_dwordx4 a[84:87], v39, s[24:27], 0 offen offset:1024// 0000000037E0: E05C1400 80865427
	buffer_load_dwordx4 a[88:91], v39, s[24:27], 0 offen offset:2048// 0000000037E8: E05C1800 80865827
	buffer_load_dwordx4 a[92:95], v39, s[24:27], 0 offen offset:3072// 0000000037F0: E05C1C00 80865C27
	s_add_u32 s24, s58, s24                                    // 0000000037F8: 8018183A
	s_addc_u32 s25, 0, s25                                     // 0000000037FC: 82191980
	v_mov_b32_e32 v128, 0                                      // 000000003800: 7F000280
	v_mov_b32_e32 v129, 0                                      // 000000003804: 7F020280
	v_mov_b32_e32 v130, 0                                      // 000000003808: 7F040280
	v_mov_b32_e32 v131, 0                                      // 00000000380C: 7F060280
	v_mov_b32_e32 v132, 0                                      // 000000003810: 7F080280
	v_mov_b32_e32 v133, 0                                      // 000000003814: 7F0A0280
	v_mov_b32_e32 v134, 0                                      // 000000003818: 7F0C0280
	v_mov_b32_e32 v135, 0                                      // 00000000381C: 7F0E0280
	v_mov_b32_e32 v136, 0                                      // 000000003820: 7F100280
	v_mov_b32_e32 v137, 0                                      // 000000003824: 7F120280
	v_mov_b32_e32 v138, 0                                      // 000000003828: 7F140280
	v_mov_b32_e32 v139, 0                                      // 00000000382C: 7F160280
	v_mov_b32_e32 v140, 0                                      // 000000003830: 7F180280
	v_mov_b32_e32 v141, 0                                      // 000000003834: 7F1A0280
	v_mov_b32_e32 v142, 0                                      // 000000003838: 7F1C0280
	v_mov_b32_e32 v143, 0                                      // 00000000383C: 7F1E0280
	v_mov_b32_e32 v144, 0                                      // 000000003840: 7F200280
	v_mov_b32_e32 v145, 0                                      // 000000003844: 7F220280
	v_mov_b32_e32 v146, 0                                      // 000000003848: 7F240280
	v_mov_b32_e32 v147, 0                                      // 00000000384C: 7F260280
	v_mov_b32_e32 v148, 0                                      // 000000003850: 7F280280
	v_mov_b32_e32 v149, 0                                      // 000000003854: 7F2A0280
	v_mov_b32_e32 v150, 0                                      // 000000003858: 7F2C0280
	v_mov_b32_e32 v151, 0                                      // 00000000385C: 7F2E0280
	v_mov_b32_e32 v152, 0                                      // 000000003860: 7F300280
	v_mov_b32_e32 v153, 0                                      // 000000003864: 7F320280
	v_mov_b32_e32 v154, 0                                      // 000000003868: 7F340280
	v_mov_b32_e32 v155, 0                                      // 00000000386C: 7F360280
	v_mov_b32_e32 v156, 0                                      // 000000003870: 7F380280
	v_mov_b32_e32 v157, 0                                      // 000000003874: 7F3A0280
	v_mov_b32_e32 v158, 0                                      // 000000003878: 7F3C0280
	v_mov_b32_e32 v159, 0                                      // 00000000387C: 7F3E0280
	v_mov_b32_e32 v160, 0                                      // 000000003880: 7F400280
	v_mov_b32_e32 v161, 0                                      // 000000003884: 7F420280
	v_mov_b32_e32 v162, 0                                      // 000000003888: 7F440280
	v_mov_b32_e32 v163, 0                                      // 00000000388C: 7F460280
	v_mov_b32_e32 v164, 0                                      // 000000003890: 7F480280
	v_mov_b32_e32 v165, 0                                      // 000000003894: 7F4A0280
	v_mov_b32_e32 v166, 0                                      // 000000003898: 7F4C0280
	v_mov_b32_e32 v167, 0                                      // 00000000389C: 7F4E0280
	v_mov_b32_e32 v168, 0                                      // 0000000038A0: 7F500280
	v_mov_b32_e32 v169, 0                                      // 0000000038A4: 7F520280
	v_mov_b32_e32 v170, 0                                      // 0000000038A8: 7F540280
	v_mov_b32_e32 v171, 0                                      // 0000000038AC: 7F560280
	v_mov_b32_e32 v172, 0                                      // 0000000038B0: 7F580280
	v_mov_b32_e32 v173, 0                                      // 0000000038B4: 7F5A0280
	v_mov_b32_e32 v174, 0                                      // 0000000038B8: 7F5C0280
	v_mov_b32_e32 v175, 0                                      // 0000000038BC: 7F5E0280
	v_lshrrev_b32_e32 v48, 4, v0                               // 0000000038C0: 20600084
	v_mul_i32_i24_e32 v3, 34, v48                              // 0000000038C4: 0C0660A2
	v_and_b32_e32 v48, 15, v0                                  // 0000000038C8: 2660008F
	v_mul_i32_i24_e32 v49, 2, v48                              // 0000000038CC: 0C626082
	v_add_u32_e32 v3, v49, v3                                  // 0000000038D0: 68060731
	s_mul_i32 s60, s7, 0x88                                    // 0000000038D4: 923CFF07 00000088
	v_add_u32_e32 v3, s60, v3                                  // 0000000038DC: 6806063C
	v_lshlrev_b32_e32 v3, 2, v3                                // 0000000038E0: 24060682
	v_lshrrev_b32_e32 v48, 1, v0                               // 0000000038E4: 20600081
	v_mul_i32_i24_e32 v4, 34, v48                              // 0000000038E8: 0C0860A2
	v_and_b32_e32 v49, 1, v0                                   // 0000000038EC: 26620081
	v_add_u32_e32 v4, v49, v4                                  // 0000000038F0: 68080931
	s_mul_i32 s60, s7, 2                                       // 0000000038F4: 923C8207
	v_add_u32_e32 v4, s60, v4                                  // 0000000038F8: 6808083C
	v_lshlrev_b32_e32 v4, 2, v4                                // 0000000038FC: 24080882
	s_waitcnt vmcnt(32)                                        // 000000003900: BF8C8F70
	s_barrier                                                  // 000000003904: BF8A0000
	ds_read_b128 v[176:179], v2                                // 000000003908: D9FE0000 B0000002
	ds_read_b128 v[180:183], v2 offset:64                      // 000000003910: D9FE0040 B4000002
	ds_read_b128 v[184:187], v2 offset:128                     // 000000003918: D9FE0080 B8000002
	ds_read_b128 v[188:191], v2 offset:192                     // 000000003920: D9FE00C0 BC000002
	ds_read_b128 v[192:195], v2 offset:1024                    // 000000003928: D9FE0400 C0000002
	ds_read_b128 v[196:199], v2 offset:1088                    // 000000003930: D9FE0440 C4000002
	ds_read_b128 v[200:203], v2 offset:1152                    // 000000003938: D9FE0480 C8000002
	ds_read_b128 v[204:207], v2 offset:1216                    // 000000003940: D9FE04C0 CC000002
	s_cmp_lt_i32 s7, 2                                         // 000000003948: BF048207
	s_cbranch_scc0 label_0E22                                  // 00000000394C: BF840B4E

0000000000003950 <label_02D4>:
	s_waitcnt vmcnt(16) lgkmcnt(0)                             // 000000003950: BF8C4070
	s_barrier                                                  // 000000003954: BF8A0000
	v_mfma_i32_16x16x32_i8 v[128:131], a[0:1], v[176:177], v[128:131]// 000000003958: D3D70080 0E036100
	v_mfma_i32_16x16x32_i8 v[128:131], a[2:3], v[178:179], v[128:131]// 000000003960: D3D70080 0E036502
	buffer_load_dwordx4 a[96:99], v34, s[24:27], 0 offen       // 000000003968: E05C1000 80866022
	v_mfma_i32_16x16x32_i8 v[128:131], a[4:5], v[180:181], v[128:131]// 000000003970: D3D70080 0E036904
	v_mfma_i32_16x16x32_i8 v[128:131], a[6:7], v[182:183], v[128:131]// 000000003978: D3D70080 0E036D06
	buffer_load_dword v26, s[20:23], 0 offen lds               // 000000003980: E0511000 8005001A
	s_add_u32 m0, 0x100, s50                                   // 000000003988: 807C32FF 00000100
	v_mfma_i32_16x16x32_i8 v[128:131], a[8:9], v[184:185], v[128:131]// 000000003990: D3D70080 0E037108
	v_mfma_i32_16x16x32_i8 v[128:131], a[10:11], v[186:187], v[128:131]// 000000003998: D3D70080 0E03750A
	buffer_load_dwordx4 a[100:103], v34, s[24:27], 0 offen offset:1024// 0000000039A0: E05C1400 80866422
	v_mfma_i32_16x16x32_i8 v[128:131], a[12:13], v[188:189], v[128:131]// 0000000039A8: D3D70080 0E03790C
	v_mfma_i32_16x16x32_i8 v[128:131], a[14:15], v[190:191], v[128:131]// 0000000039B0: D3D70080 0E037D0E
	buffer_load_dword v27, s[20:23], 0 offen lds               // 0000000039B8: E0511000 8005001B
	s_add_u32 m0, 0x200, s50                                   // 0000000039C0: 807C32FF 00000200
	v_mfma_i32_16x16x32_i8 v[132:135], a[0:1], v[192:193], v[132:135]// 0000000039C8: D3D70084 0E138100
	v_mfma_i32_16x16x32_i8 v[132:135], a[2:3], v[194:195], v[132:135]// 0000000039D0: D3D70084 0E138502
	buffer_load_dwordx4 a[104:107], v34, s[24:27], 0 offen offset:2048// 0000000039D8: E05C1800 80866822
	v_mfma_i32_16x16x32_i8 v[132:135], a[4:5], v[196:197], v[132:135]// 0000000039E0: D3D70084 0E138904
	v_mfma_i32_16x16x32_i8 v[132:135], a[6:7], v[198:199], v[132:135]// 0000000039E8: D3D70084 0E138D06
	buffer_load_dword v28, s[20:23], 0 offen lds               // 0000000039F0: E0511000 8005001C
	s_add_u32 m0, 0x300, s50                                   // 0000000039F8: 807C32FF 00000300
	v_mfma_i32_16x16x32_i8 v[132:135], a[8:9], v[200:201], v[132:135]// 000000003A00: D3D70084 0E139108
	v_mfma_i32_16x16x32_i8 v[132:135], a[10:11], v[202:203], v[132:135]// 000000003A08: D3D70084 0E13950A
	buffer_load_dwordx4 a[108:111], v34, s[24:27], 0 offen offset:3072// 000000003A10: E05C1C00 80866C22
	v_mfma_i32_16x16x32_i8 v[132:135], a[12:13], v[204:205], v[132:135]// 000000003A18: D3D70084 0E13990C
	v_mfma_i32_16x16x32_i8 v[132:135], a[14:15], v[206:207], v[132:135]// 000000003A20: D3D70084 0E139D0E
	buffer_load_dword v29, s[20:23], 0 offen lds               // 000000003A28: E0511000 8005001D
	s_add_u32 m0, 0x400, s50                                   // 000000003A30: 807C32FF 00000400
	v_mfma_i32_16x16x32_i8 v[136:139], a[16:17], v[176:177], v[136:139]// 000000003A38: D3D70088 0E236110
	v_mfma_i32_16x16x32_i8 v[136:139], a[18:19], v[178:179], v[136:139]// 000000003A40: D3D70088 0E236512
	buffer_load_dwordx4 a[112:115], v35, s[24:27], 0 offen     // 000000003A48: E05C1000 80867023
	v_mfma_i32_16x16x32_i8 v[136:139], a[20:21], v[180:181], v[136:139]// 000000003A50: D3D70088 0E236914
	v_mfma_i32_16x16x32_i8 v[136:139], a[22:23], v[182:183], v[136:139]// 000000003A58: D3D70088 0E236D16
	buffer_load_dword v30, s[20:23], 0 offen lds               // 000000003A60: E0511000 8005001E
	s_add_u32 m0, 0x500, s50                                   // 000000003A68: 807C32FF 00000500
	v_mfma_i32_16x16x32_i8 v[136:139], a[24:25], v[184:185], v[136:139]// 000000003A70: D3D70088 0E237118
	v_mfma_i32_16x16x32_i8 v[136:139], a[26:27], v[186:187], v[136:139]// 000000003A78: D3D70088 0E23751A
	buffer_load_dwordx4 a[116:119], v35, s[24:27], 0 offen offset:1024// 000000003A80: E05C1400 80867423
	v_mfma_i32_16x16x32_i8 v[136:139], a[28:29], v[188:189], v[136:139]// 000000003A88: D3D70088 0E23791C
	v_mfma_i32_16x16x32_i8 v[136:139], a[30:31], v[190:191], v[136:139]// 000000003A90: D3D70088 0E237D1E
	buffer_load_dword v31, s[20:23], 0 offen lds               // 000000003A98: E0511000 8005001F
	s_add_u32 m0, 0x600, s50                                   // 000000003AA0: 807C32FF 00000600
	v_mfma_i32_16x16x32_i8 v[140:143], a[16:17], v[192:193], v[140:143]// 000000003AA8: D3D7008C 0E338110
	v_mfma_i32_16x16x32_i8 v[140:143], a[18:19], v[194:195], v[140:143]// 000000003AB0: D3D7008C 0E338512
	buffer_load_dwordx4 a[120:123], v35, s[24:27], 0 offen offset:2048// 000000003AB8: E05C1800 80867823
	v_mfma_i32_16x16x32_i8 v[140:143], a[20:21], v[196:197], v[140:143]// 000000003AC0: D3D7008C 0E338914
	v_mfma_i32_16x16x32_i8 v[140:143], a[22:23], v[198:199], v[140:143]// 000000003AC8: D3D7008C 0E338D16
	buffer_load_dword v32, s[20:23], 0 offen lds               // 000000003AD0: E0511000 80050020
	s_add_u32 m0, 0x700, s50                                   // 000000003AD8: 807C32FF 00000700
	v_mfma_i32_16x16x32_i8 v[140:143], a[24:25], v[200:201], v[140:143]// 000000003AE0: D3D7008C 0E339118
	v_mfma_i32_16x16x32_i8 v[140:143], a[26:27], v[202:203], v[140:143]// 000000003AE8: D3D7008C 0E33951A
	buffer_load_dwordx4 a[124:127], v35, s[24:27], 0 offen offset:3072// 000000003AF0: E05C1C00 80867C23
	v_mfma_i32_16x16x32_i8 v[140:143], a[28:29], v[204:205], v[140:143]// 000000003AF8: D3D7008C 0E33991C
	v_mfma_i32_16x16x32_i8 v[140:143], a[30:31], v[206:207], v[140:143]// 000000003B00: D3D7008C 0E339D1E
	buffer_load_dword v33, s[20:23], 0 offen lds               // 000000003B08: E0511000 80050021
	s_add_u32 m0, 0, s51                                       // 000000003B10: 807C3380
	s_waitcnt vmcnt(28)                                        // 000000003B14: BF8C4F7C
	v_mfma_i32_16x16x32_i8 v[144:147], a[32:33], v[176:177], v[144:147]// 000000003B18: D3D70090 0E436120
	v_mfma_i32_16x16x32_i8 v[144:147], a[34:35], v[178:179], v[144:147]// 000000003B20: D3D70090 0E436522
	buffer_load_dwordx4 a[128:131], v36, s[24:27], 0 offen     // 000000003B28: E05C1000 80868024
	v_mfma_i32_16x16x32_i8 v[144:147], a[36:37], v[180:181], v[144:147]// 000000003B30: D3D70090 0E436924
	v_mfma_i32_16x16x32_i8 v[144:147], a[38:39], v[182:183], v[144:147]// 000000003B38: D3D70090 0E436D26
	ds_read_b128 v[208:211], v2 offset:8320                    // 000000003B40: D9FE2080 D0000002
	v_mfma_i32_16x16x32_i8 v[144:147], a[40:41], v[184:185], v[144:147]// 000000003B48: D3D70090 0E437128
	v_mfma_i32_16x16x32_i8 v[144:147], a[42:43], v[186:187], v[144:147]// 000000003B50: D3D70090 0E43752A
	buffer_load_dwordx4 a[132:135], v36, s[24:27], 0 offen offset:1024// 000000003B58: E05C1400 80868424
	v_mfma_i32_16x16x32_i8 v[144:147], a[44:45], v[188:189], v[144:147]// 000000003B60: D3D70090 0E43792C
	v_mfma_i32_16x16x32_i8 v[144:147], a[46:47], v[190:191], v[144:147]// 000000003B68: D3D70090 0E437D2E
	ds_read_b128 v[212:215], v2 offset:8384                    // 000000003B70: D9FE20C0 D4000002
	v_mfma_i32_16x16x32_i8 v[148:151], a[32:33], v[192:193], v[148:151]// 000000003B78: D3D70094 0E538120
	v_mfma_i32_16x16x32_i8 v[148:151], a[34:35], v[194:195], v[148:151]// 000000003B80: D3D70094 0E538522
	buffer_load_dwordx4 a[136:139], v36, s[24:27], 0 offen offset:2048// 000000003B88: E05C1800 80868824
	v_mfma_i32_16x16x32_i8 v[148:151], a[36:37], v[196:197], v[148:151]// 000000003B90: D3D70094 0E538924
	v_mfma_i32_16x16x32_i8 v[148:151], a[38:39], v[198:199], v[148:151]// 000000003B98: D3D70094 0E538D26
	ds_read_b128 v[216:219], v2 offset:8448                    // 000000003BA0: D9FE2100 D8000002
	v_mfma_i32_16x16x32_i8 v[148:151], a[40:41], v[200:201], v[148:151]// 000000003BA8: D3D70094 0E539128
	v_mfma_i32_16x16x32_i8 v[148:151], a[42:43], v[202:203], v[148:151]// 000000003BB0: D3D70094 0E53952A
	buffer_load_dwordx4 a[140:143], v36, s[24:27], 0 offen offset:3072// 000000003BB8: E05C1C00 80868C24
	v_mfma_i32_16x16x32_i8 v[148:151], a[44:45], v[204:205], v[148:151]// 000000003BC0: D3D70094 0E53992C
	v_mfma_i32_16x16x32_i8 v[148:151], a[46:47], v[206:207], v[148:151]// 000000003BC8: D3D70094 0E539D2E
	ds_read_b128 v[220:223], v2 offset:8512                    // 000000003BD0: D9FE2140 DC000002
	s_waitcnt vmcnt(28)                                        // 000000003BD8: BF8C4F7C
	v_mfma_i32_16x16x32_i8 v[152:155], a[48:49], v[176:177], v[152:155]// 000000003BDC: D3D70098 0E636130
	v_mfma_i32_16x16x32_i8 v[152:155], a[50:51], v[178:179], v[152:155]// 000000003BE4: D3D70098 0E636532
	buffer_load_dwordx4 a[144:147], v37, s[24:27], 0 offen     // 000000003BEC: E05C1000 80869025
	v_mfma_i32_16x16x32_i8 v[152:155], a[52:53], v[180:181], v[152:155]// 000000003BF4: D3D70098 0E636934
	v_mfma_i32_16x16x32_i8 v[152:155], a[54:55], v[182:183], v[152:155]// 000000003BFC: D3D70098 0E636D36
	ds_read_b128 v[224:227], v2 offset:9344                    // 000000003C04: D9FE2480 E0000002
	v_mfma_i32_16x16x32_i8 v[152:155], a[56:57], v[184:185], v[152:155]// 000000003C0C: D3D70098 0E637138
	v_mfma_i32_16x16x32_i8 v[152:155], a[58:59], v[186:187], v[152:155]// 000000003C14: D3D70098 0E63753A
	buffer_load_dwordx4 a[148:151], v37, s[24:27], 0 offen offset:1024// 000000003C1C: E05C1400 80869425
	v_mfma_i32_16x16x32_i8 v[152:155], a[60:61], v[188:189], v[152:155]// 000000003C24: D3D70098 0E63793C
	v_mfma_i32_16x16x32_i8 v[152:155], a[62:63], v[190:191], v[152:155]// 000000003C2C: D3D70098 0E637D3E
	ds_read_b128 v[228:231], v2 offset:9408                    // 000000003C34: D9FE24C0 E4000002
	v_mfma_i32_16x16x32_i8 v[156:159], a[48:49], v[192:193], v[156:159]// 000000003C3C: D3D7009C 0E738130
	v_mfma_i32_16x16x32_i8 v[156:159], a[50:51], v[194:195], v[156:159]// 000000003C44: D3D7009C 0E738532
	buffer_load_dwordx4 a[152:155], v37, s[24:27], 0 offen offset:2048// 000000003C4C: E05C1800 80869825
	v_mfma_i32_16x16x32_i8 v[156:159], a[52:53], v[196:197], v[156:159]// 000000003C54: D3D7009C 0E738934
	v_mfma_i32_16x16x32_i8 v[156:159], a[54:55], v[198:199], v[156:159]// 000000003C5C: D3D7009C 0E738D36
	ds_read_b128 v[232:235], v2 offset:9472                    // 000000003C64: D9FE2500 E8000002
	v_mfma_i32_16x16x32_i8 v[156:159], a[56:57], v[200:201], v[156:159]// 000000003C6C: D3D7009C 0E739138
	v_mfma_i32_16x16x32_i8 v[156:159], a[58:59], v[202:203], v[156:159]// 000000003C74: D3D7009C 0E73953A
	buffer_load_dwordx4 a[156:159], v37, s[24:27], 0 offen offset:3072// 000000003C7C: E05C1C00 80869C25
	v_mfma_i32_16x16x32_i8 v[156:159], a[60:61], v[204:205], v[156:159]// 000000003C84: D3D7009C 0E73993C
	v_mfma_i32_16x16x32_i8 v[156:159], a[62:63], v[206:207], v[156:159]// 000000003C8C: D3D7009C 0E739D3E
	ds_read_b128 v[236:239], v2 offset:9536                    // 000000003C94: D9FE2540 EC000002
	s_waitcnt vmcnt(28)                                        // 000000003C9C: BF8C4F7C
	v_mfma_i32_16x16x32_i8 v[160:163], a[64:65], v[176:177], v[160:163]// 000000003CA0: D3D700A0 0E836140
	v_mfma_i32_16x16x32_i8 v[160:163], a[66:67], v[178:179], v[160:163]// 000000003CA8: D3D700A0 0E836542
	buffer_load_dwordx4 a[160:163], v38, s[24:27], 0 offen     // 000000003CB0: E05C1000 8086A026
	v_mfma_i32_16x16x32_i8 v[160:163], a[68:69], v[180:181], v[160:163]// 000000003CB8: D3D700A0 0E836944
	v_mfma_i32_16x16x32_i8 v[160:163], a[70:71], v[182:183], v[160:163]// 000000003CC0: D3D700A0 0E836D46
	v_mfma_i32_16x16x32_i8 v[160:163], a[72:73], v[184:185], v[160:163]// 000000003CC8: D3D700A0 0E837148
	v_mfma_i32_16x16x32_i8 v[160:163], a[74:75], v[186:187], v[160:163]// 000000003CD0: D3D700A0 0E83754A
	buffer_load_dwordx4 a[164:167], v38, s[24:27], 0 offen offset:1024// 000000003CD8: E05C1400 8086A426
	v_mfma_i32_16x16x32_i8 v[160:163], a[76:77], v[188:189], v[160:163]// 000000003CE0: D3D700A0 0E83794C
	v_mfma_i32_16x16x32_i8 v[160:163], a[78:79], v[190:191], v[160:163]// 000000003CE8: D3D700A0 0E837D4E
	v_mfma_i32_16x16x32_i8 v[164:167], a[64:65], v[192:193], v[164:167]// 000000003CF0: D3D700A4 0E938140
	v_mfma_i32_16x16x32_i8 v[164:167], a[66:67], v[194:195], v[164:167]// 000000003CF8: D3D700A4 0E938542
	buffer_load_dwordx4 a[168:171], v38, s[24:27], 0 offen offset:2048// 000000003D00: E05C1800 8086A826
	v_mfma_i32_16x16x32_i8 v[164:167], a[68:69], v[196:197], v[164:167]// 000000003D08: D3D700A4 0E938944
	v_mfma_i32_16x16x32_i8 v[164:167], a[70:71], v[198:199], v[164:167]// 000000003D10: D3D700A4 0E938D46
	v_mfma_i32_16x16x32_i8 v[164:167], a[72:73], v[200:201], v[164:167]// 000000003D18: D3D700A4 0E939148
	v_mfma_i32_16x16x32_i8 v[164:167], a[74:75], v[202:203], v[164:167]// 000000003D20: D3D700A4 0E93954A
	buffer_load_dwordx4 a[172:175], v38, s[24:27], 0 offen offset:3072// 000000003D28: E05C1C00 8086AC26
	v_mfma_i32_16x16x32_i8 v[164:167], a[76:77], v[204:205], v[164:167]// 000000003D30: D3D700A4 0E93994C
	v_mfma_i32_16x16x32_i8 v[164:167], a[78:79], v[206:207], v[164:167]// 000000003D38: D3D700A4 0E939D4E
	s_waitcnt vmcnt(28)                                        // 000000003D40: BF8C4F7C
	v_mfma_i32_16x16x32_i8 v[168:171], a[80:81], v[176:177], v[168:171]// 000000003D44: D3D700A8 0EA36150
	v_mfma_i32_16x16x32_i8 v[168:171], a[82:83], v[178:179], v[168:171]// 000000003D4C: D3D700A8 0EA36552
	buffer_load_dwordx4 a[176:179], v39, s[24:27], 0 offen     // 000000003D54: E05C1000 8086B027
	v_mfma_i32_16x16x32_i8 v[168:171], a[84:85], v[180:181], v[168:171]// 000000003D5C: D3D700A8 0EA36954
	v_mfma_i32_16x16x32_i8 v[168:171], a[86:87], v[182:183], v[168:171]// 000000003D64: D3D700A8 0EA36D56
	v_mfma_i32_16x16x32_i8 v[168:171], a[88:89], v[184:185], v[168:171]// 000000003D6C: D3D700A8 0EA37158
	v_mfma_i32_16x16x32_i8 v[168:171], a[90:91], v[186:187], v[168:171]// 000000003D74: D3D700A8 0EA3755A
	buffer_load_dwordx4 a[180:183], v39, s[24:27], 0 offen offset:1024// 000000003D7C: E05C1400 8086B427
	v_mfma_i32_16x16x32_i8 v[168:171], a[92:93], v[188:189], v[168:171]// 000000003D84: D3D700A8 0EA3795C
	v_mfma_i32_16x16x32_i8 v[168:171], a[94:95], v[190:191], v[168:171]// 000000003D8C: D3D700A8 0EA37D5E
	v_mfma_i32_16x16x32_i8 v[172:175], a[80:81], v[192:193], v[172:175]// 000000003D94: D3D700AC 0EB38150
	v_mfma_i32_16x16x32_i8 v[172:175], a[82:83], v[194:195], v[172:175]// 000000003D9C: D3D700AC 0EB38552
	buffer_load_dwordx4 a[184:187], v39, s[24:27], 0 offen offset:2048// 000000003DA4: E05C1800 8086B827
	v_mfma_i32_16x16x32_i8 v[172:175], a[84:85], v[196:197], v[172:175]// 000000003DAC: D3D700AC 0EB38954
	v_mfma_i32_16x16x32_i8 v[172:175], a[86:87], v[198:199], v[172:175]// 000000003DB4: D3D700AC 0EB38D56
	v_mfma_i32_16x16x32_i8 v[172:175], a[88:89], v[200:201], v[172:175]// 000000003DBC: D3D700AC 0EB39158
	v_mfma_i32_16x16x32_i8 v[172:175], a[90:91], v[202:203], v[172:175]// 000000003DC4: D3D700AC 0EB3955A
	buffer_load_dwordx4 a[188:191], v39, s[24:27], 0 offen offset:3072// 000000003DCC: E05C1C00 8086BC27
	v_mfma_i32_16x16x32_i8 v[172:175], a[92:93], v[204:205], v[172:175]// 000000003DD4: D3D700AC 0EB3995C
	v_mfma_i32_16x16x32_i8 v[172:175], a[94:95], v[206:207], v[172:175]// 000000003DDC: D3D700AC 0EB39D5E
	s_add_u32 s60, 0x300, s80                                  // 000000003DE4: 803C50FF 00000300
	s_cmp_lt_u32 s60, s81                                      // 000000003DEC: BF0A513C
	s_cselect_b32 s57, s57, 0                                  // 000000003DF0: 85398039
	s_add_u32 s60, 0x200, s80                                  // 000000003DF4: 803C50FF 00000200
	s_cmp_lt_u32 s60, s81                                      // 000000003DFC: BF0A513C
	s_cselect_b32 s58, s58, 0                                  // 000000003E00: 853A803A
	s_add_u32 s20, s57, s20                                    // 000000003E04: 80141439
	s_addc_u32 s21, 0, s21                                     // 000000003E08: 82151580
	s_add_u32 s24, s58, s24                                    // 000000003E0C: 8018183A
	s_addc_u32 s25, 0, s25                                     // 000000003E10: 82191980
	s_addk_i32 s80, 0x100                                      // 000000003E14: B7500100
	s_cmp_lt_i32 s80, s81                                      // 000000003E18: BF045150
	s_cbranch_scc0 label_053D                                  // 000000003E1C: BF840135
	s_waitcnt vmcnt(16) lgkmcnt(0)                             // 000000003E20: BF8C4070
	s_barrier                                                  // 000000003E24: BF8A0000
	v_mfma_i32_16x16x32_i8 v[128:131], a[96:97], v[208:209], v[128:131]// 000000003E28: D3D70080 0E03A160
	v_mfma_i32_16x16x32_i8 v[128:131], a[98:99], v[210:211], v[128:131]// 000000003E30: D3D70080 0E03A562
	buffer_load_dwordx4 a[0:3], v34, s[24:27], 0 offen         // 000000003E38: E05C1000 80860022
	v_mfma_i32_16x16x32_i8 v[128:131], a[100:101], v[212:213], v[128:131]// 000000003E40: D3D70080 0E03A964
	v_mfma_i32_16x16x32_i8 v[128:131], a[102:103], v[214:215], v[128:131]// 000000003E48: D3D70080 0E03AD66
	buffer_load_dword v26, s[20:23], 0 offen lds               // 000000003E50: E0511000 8005001A
	s_add_u32 m0, 0x100, s51                                   // 000000003E58: 807C33FF 00000100
	v_mfma_i32_16x16x32_i8 v[128:131], a[104:105], v[216:217], v[128:131]// 000000003E60: D3D70080 0E03B168
	v_mfma_i32_16x16x32_i8 v[128:131], a[106:107], v[218:219], v[128:131]// 000000003E68: D3D70080 0E03B56A
	buffer_load_dwordx4 a[4:7], v34, s[24:27], 0 offen offset:1024// 000000003E70: E05C1400 80860422
	v_mfma_i32_16x16x32_i8 v[128:131], a[108:109], v[220:221], v[128:131]// 000000003E78: D3D70080 0E03B96C
	v_mfma_i32_16x16x32_i8 v[128:131], a[110:111], v[222:223], v[128:131]// 000000003E80: D3D70080 0E03BD6E
	buffer_load_dword v27, s[20:23], 0 offen lds               // 000000003E88: E0511000 8005001B
	s_add_u32 m0, 0x200, s51                                   // 000000003E90: 807C33FF 00000200
	v_mfma_i32_16x16x32_i8 v[132:135], a[96:97], v[224:225], v[132:135]// 000000003E98: D3D70084 0E13C160
	v_mfma_i32_16x16x32_i8 v[132:135], a[98:99], v[226:227], v[132:135]// 000000003EA0: D3D70084 0E13C562
	buffer_load_dwordx4 a[8:11], v34, s[24:27], 0 offen offset:2048// 000000003EA8: E05C1800 80860822
	v_mfma_i32_16x16x32_i8 v[132:135], a[100:101], v[228:229], v[132:135]// 000000003EB0: D3D70084 0E13C964
	v_mfma_i32_16x16x32_i8 v[132:135], a[102:103], v[230:231], v[132:135]// 000000003EB8: D3D70084 0E13CD66
	buffer_load_dword v28, s[20:23], 0 offen lds               // 000000003EC0: E0511000 8005001C
	s_add_u32 m0, 0x300, s51                                   // 000000003EC8: 807C33FF 00000300
	v_mfma_i32_16x16x32_i8 v[132:135], a[104:105], v[232:233], v[132:135]// 000000003ED0: D3D70084 0E13D168
	v_mfma_i32_16x16x32_i8 v[132:135], a[106:107], v[234:235], v[132:135]// 000000003ED8: D3D70084 0E13D56A
	buffer_load_dwordx4 a[12:15], v34, s[24:27], 0 offen offset:3072// 000000003EE0: E05C1C00 80860C22
	v_mfma_i32_16x16x32_i8 v[132:135], a[108:109], v[236:237], v[132:135]// 000000003EE8: D3D70084 0E13D96C
	v_mfma_i32_16x16x32_i8 v[132:135], a[110:111], v[238:239], v[132:135]// 000000003EF0: D3D70084 0E13DD6E
	buffer_load_dword v29, s[20:23], 0 offen lds               // 000000003EF8: E0511000 8005001D
	s_add_u32 m0, 0x400, s51                                   // 000000003F00: 807C33FF 00000400
	v_mfma_i32_16x16x32_i8 v[136:139], a[112:113], v[208:209], v[136:139]// 000000003F08: D3D70088 0E23A170
	v_mfma_i32_16x16x32_i8 v[136:139], a[114:115], v[210:211], v[136:139]// 000000003F10: D3D70088 0E23A572
	buffer_load_dwordx4 a[16:19], v35, s[24:27], 0 offen       // 000000003F18: E05C1000 80861023
	v_mfma_i32_16x16x32_i8 v[136:139], a[116:117], v[212:213], v[136:139]// 000000003F20: D3D70088 0E23A974
	v_mfma_i32_16x16x32_i8 v[136:139], a[118:119], v[214:215], v[136:139]// 000000003F28: D3D70088 0E23AD76
	buffer_load_dword v30, s[20:23], 0 offen lds               // 000000003F30: E0511000 8005001E
	s_add_u32 m0, 0x500, s51                                   // 000000003F38: 807C33FF 00000500
	v_mfma_i32_16x16x32_i8 v[136:139], a[120:121], v[216:217], v[136:139]// 000000003F40: D3D70088 0E23B178
	v_mfma_i32_16x16x32_i8 v[136:139], a[122:123], v[218:219], v[136:139]// 000000003F48: D3D70088 0E23B57A
	buffer_load_dwordx4 a[20:23], v35, s[24:27], 0 offen offset:1024// 000000003F50: E05C1400 80861423
	v_mfma_i32_16x16x32_i8 v[136:139], a[124:125], v[220:221], v[136:139]// 000000003F58: D3D70088 0E23B97C
	v_mfma_i32_16x16x32_i8 v[136:139], a[126:127], v[222:223], v[136:139]// 000000003F60: D3D70088 0E23BD7E
	buffer_load_dword v31, s[20:23], 0 offen lds               // 000000003F68: E0511000 8005001F
	s_add_u32 m0, 0x600, s51                                   // 000000003F70: 807C33FF 00000600
	v_mfma_i32_16x16x32_i8 v[140:143], a[112:113], v[224:225], v[140:143]// 000000003F78: D3D7008C 0E33C170
	v_mfma_i32_16x16x32_i8 v[140:143], a[114:115], v[226:227], v[140:143]// 000000003F80: D3D7008C 0E33C572
	buffer_load_dwordx4 a[24:27], v35, s[24:27], 0 offen offset:2048// 000000003F88: E05C1800 80861823
	v_mfma_i32_16x16x32_i8 v[140:143], a[116:117], v[228:229], v[140:143]// 000000003F90: D3D7008C 0E33C974
	v_mfma_i32_16x16x32_i8 v[140:143], a[118:119], v[230:231], v[140:143]// 000000003F98: D3D7008C 0E33CD76
	buffer_load_dword v32, s[20:23], 0 offen lds               // 000000003FA0: E0511000 80050020
	s_add_u32 m0, 0x700, s51                                   // 000000003FA8: 807C33FF 00000700
	v_mfma_i32_16x16x32_i8 v[140:143], a[120:121], v[232:233], v[140:143]// 000000003FB0: D3D7008C 0E33D178
	v_mfma_i32_16x16x32_i8 v[140:143], a[122:123], v[234:235], v[140:143]// 000000003FB8: D3D7008C 0E33D57A
	buffer_load_dwordx4 a[28:31], v35, s[24:27], 0 offen offset:3072// 000000003FC0: E05C1C00 80861C23
	v_mfma_i32_16x16x32_i8 v[140:143], a[124:125], v[236:237], v[140:143]// 000000003FC8: D3D7008C 0E33D97C
	v_mfma_i32_16x16x32_i8 v[140:143], a[126:127], v[238:239], v[140:143]// 000000003FD0: D3D7008C 0E33DD7E
	buffer_load_dword v33, s[20:23], 0 offen lds               // 000000003FD8: E0511000 80050021
	s_add_u32 m0, 0, s50                                       // 000000003FE0: 807C3280
	s_waitcnt vmcnt(28)                                        // 000000003FE4: BF8C4F7C
	v_mfma_i32_16x16x32_i8 v[144:147], a[128:129], v[208:209], v[144:147]// 000000003FE8: D3D70090 0E43A180
	v_mfma_i32_16x16x32_i8 v[144:147], a[130:131], v[210:211], v[144:147]// 000000003FF0: D3D70090 0E43A582
	buffer_load_dwordx4 a[32:35], v36, s[24:27], 0 offen       // 000000003FF8: E05C1000 80862024
	v_mfma_i32_16x16x32_i8 v[144:147], a[132:133], v[212:213], v[144:147]// 000000004000: D3D70090 0E43A984
	v_mfma_i32_16x16x32_i8 v[144:147], a[134:135], v[214:215], v[144:147]// 000000004008: D3D70090 0E43AD86
	ds_read_b128 v[176:179], v2                                // 000000004010: D9FE0000 B0000002
	v_mfma_i32_16x16x32_i8 v[144:147], a[136:137], v[216:217], v[144:147]// 000000004018: D3D70090 0E43B188
	v_mfma_i32_16x16x32_i8 v[144:147], a[138:139], v[218:219], v[144:147]// 000000004020: D3D70090 0E43B58A
	buffer_load_dwordx4 a[36:39], v36, s[24:27], 0 offen offset:1024// 000000004028: E05C1400 80862424
	v_mfma_i32_16x16x32_i8 v[144:147], a[140:141], v[220:221], v[144:147]// 000000004030: D3D70090 0E43B98C
	v_mfma_i32_16x16x32_i8 v[144:147], a[142:143], v[222:223], v[144:147]// 000000004038: D3D70090 0E43BD8E
	ds_read_b128 v[180:183], v2 offset:64                      // 000000004040: D9FE0040 B4000002
	v_mfma_i32_16x16x32_i8 v[148:151], a[128:129], v[224:225], v[148:151]// 000000004048: D3D70094 0E53C180
	v_mfma_i32_16x16x32_i8 v[148:151], a[130:131], v[226:227], v[148:151]// 000000004050: D3D70094 0E53C582
	buffer_load_dwordx4 a[40:43], v36, s[24:27], 0 offen offset:2048// 000000004058: E05C1800 80862824
	v_mfma_i32_16x16x32_i8 v[148:151], a[132:133], v[228:229], v[148:151]// 000000004060: D3D70094 0E53C984
	v_mfma_i32_16x16x32_i8 v[148:151], a[134:135], v[230:231], v[148:151]// 000000004068: D3D70094 0E53CD86
	ds_read_b128 v[184:187], v2 offset:128                     // 000000004070: D9FE0080 B8000002
	v_mfma_i32_16x16x32_i8 v[148:151], a[136:137], v[232:233], v[148:151]// 000000004078: D3D70094 0E53D188
	v_mfma_i32_16x16x32_i8 v[148:151], a[138:139], v[234:235], v[148:151]// 000000004080: D3D70094 0E53D58A
	buffer_load_dwordx4 a[44:47], v36, s[24:27], 0 offen offset:3072// 000000004088: E05C1C00 80862C24
	v_mfma_i32_16x16x32_i8 v[148:151], a[140:141], v[236:237], v[148:151]// 000000004090: D3D70094 0E53D98C
	v_mfma_i32_16x16x32_i8 v[148:151], a[142:143], v[238:239], v[148:151]// 000000004098: D3D70094 0E53DD8E
	ds_read_b128 v[188:191], v2 offset:192                     // 0000000040A0: D9FE00C0 BC000002
	s_waitcnt vmcnt(28)                                        // 0000000040A8: BF8C4F7C
	v_mfma_i32_16x16x32_i8 v[152:155], a[144:145], v[208:209], v[152:155]// 0000000040AC: D3D70098 0E63A190
	v_mfma_i32_16x16x32_i8 v[152:155], a[146:147], v[210:211], v[152:155]// 0000000040B4: D3D70098 0E63A592
	buffer_load_dwordx4 a[48:51], v37, s[24:27], 0 offen       // 0000000040BC: E05C1000 80863025
	v_mfma_i32_16x16x32_i8 v[152:155], a[148:149], v[212:213], v[152:155]// 0000000040C4: D3D70098 0E63A994
	v_mfma_i32_16x16x32_i8 v[152:155], a[150:151], v[214:215], v[152:155]// 0000000040CC: D3D70098 0E63AD96
	ds_read_b128 v[192:195], v2 offset:1024                    // 0000000040D4: D9FE0400 C0000002
	v_mfma_i32_16x16x32_i8 v[152:155], a[152:153], v[216:217], v[152:155]// 0000000040DC: D3D70098 0E63B198
	v_mfma_i32_16x16x32_i8 v[152:155], a[154:155], v[218:219], v[152:155]// 0000000040E4: D3D70098 0E63B59A
	buffer_load_dwordx4 a[52:55], v37, s[24:27], 0 offen offset:1024// 0000000040EC: E05C1400 80863425
	v_mfma_i32_16x16x32_i8 v[152:155], a[156:157], v[220:221], v[152:155]// 0000000040F4: D3D70098 0E63B99C
	v_mfma_i32_16x16x32_i8 v[152:155], a[158:159], v[222:223], v[152:155]// 0000000040FC: D3D70098 0E63BD9E
	ds_read_b128 v[196:199], v2 offset:1088                    // 000000004104: D9FE0440 C4000002
	v_mfma_i32_16x16x32_i8 v[156:159], a[144:145], v[224:225], v[156:159]// 00000000410C: D3D7009C 0E73C190
	v_mfma_i32_16x16x32_i8 v[156:159], a[146:147], v[226:227], v[156:159]// 000000004114: D3D7009C 0E73C592
	buffer_load_dwordx4 a[56:59], v37, s[24:27], 0 offen offset:2048// 00000000411C: E05C1800 80863825
	v_mfma_i32_16x16x32_i8 v[156:159], a[148:149], v[228:229], v[156:159]// 000000004124: D3D7009C 0E73C994
	v_mfma_i32_16x16x32_i8 v[156:159], a[150:151], v[230:231], v[156:159]// 00000000412C: D3D7009C 0E73CD96
	ds_read_b128 v[200:203], v2 offset:1152                    // 000000004134: D9FE0480 C8000002
	v_mfma_i32_16x16x32_i8 v[156:159], a[152:153], v[232:233], v[156:159]// 00000000413C: D3D7009C 0E73D198
	v_mfma_i32_16x16x32_i8 v[156:159], a[154:155], v[234:235], v[156:159]// 000000004144: D3D7009C 0E73D59A
	buffer_load_dwordx4 a[60:63], v37, s[24:27], 0 offen offset:3072// 00000000414C: E05C1C00 80863C25
	v_mfma_i32_16x16x32_i8 v[156:159], a[156:157], v[236:237], v[156:159]// 000000004154: D3D7009C 0E73D99C
	v_mfma_i32_16x16x32_i8 v[156:159], a[158:159], v[238:239], v[156:159]// 00000000415C: D3D7009C 0E73DD9E
	ds_read_b128 v[204:207], v2 offset:1216                    // 000000004164: D9FE04C0 CC000002
	s_waitcnt vmcnt(28)                                        // 00000000416C: BF8C4F7C
	v_mfma_i32_16x16x32_i8 v[160:163], a[160:161], v[208:209], v[160:163]// 000000004170: D3D700A0 0E83A1A0
	v_mfma_i32_16x16x32_i8 v[160:163], a[162:163], v[210:211], v[160:163]// 000000004178: D3D700A0 0E83A5A2
	buffer_load_dwordx4 a[64:67], v38, s[24:27], 0 offen       // 000000004180: E05C1000 80864026
	v_mfma_i32_16x16x32_i8 v[160:163], a[164:165], v[212:213], v[160:163]// 000000004188: D3D700A0 0E83A9A4
	v_mfma_i32_16x16x32_i8 v[160:163], a[166:167], v[214:215], v[160:163]// 000000004190: D3D700A0 0E83ADA6
	v_mfma_i32_16x16x32_i8 v[160:163], a[168:169], v[216:217], v[160:163]// 000000004198: D3D700A0 0E83B1A8
	v_mfma_i32_16x16x32_i8 v[160:163], a[170:171], v[218:219], v[160:163]// 0000000041A0: D3D700A0 0E83B5AA
	buffer_load_dwordx4 a[68:71], v38, s[24:27], 0 offen offset:1024// 0000000041A8: E05C1400 80864426
	v_mfma_i32_16x16x32_i8 v[160:163], a[172:173], v[220:221], v[160:163]// 0000000041B0: D3D700A0 0E83B9AC
	v_mfma_i32_16x16x32_i8 v[160:163], a[174:175], v[222:223], v[160:163]// 0000000041B8: D3D700A0 0E83BDAE
	v_mfma_i32_16x16x32_i8 v[164:167], a[160:161], v[224:225], v[164:167]// 0000000041C0: D3D700A4 0E93C1A0
	v_mfma_i32_16x16x32_i8 v[164:167], a[162:163], v[226:227], v[164:167]// 0000000041C8: D3D700A4 0E93C5A2
	buffer_load_dwordx4 a[72:75], v38, s[24:27], 0 offen offset:2048// 0000000041D0: E05C1800 80864826
	v_mfma_i32_16x16x32_i8 v[164:167], a[164:165], v[228:229], v[164:167]// 0000000041D8: D3D700A4 0E93C9A4
	v_mfma_i32_16x16x32_i8 v[164:167], a[166:167], v[230:231], v[164:167]// 0000000041E0: D3D700A4 0E93CDA6
	v_mfma_i32_16x16x32_i8 v[164:167], a[168:169], v[232:233], v[164:167]// 0000000041E8: D3D700A4 0E93D1A8
	v_mfma_i32_16x16x32_i8 v[164:167], a[170:171], v[234:235], v[164:167]// 0000000041F0: D3D700A4 0E93D5AA
	buffer_load_dwordx4 a[76:79], v38, s[24:27], 0 offen offset:3072// 0000000041F8: E05C1C00 80864C26
	v_mfma_i32_16x16x32_i8 v[164:167], a[172:173], v[236:237], v[164:167]// 000000004200: D3D700A4 0E93D9AC
	v_mfma_i32_16x16x32_i8 v[164:167], a[174:175], v[238:239], v[164:167]// 000000004208: D3D700A4 0E93DDAE
	s_waitcnt vmcnt(28)                                        // 000000004210: BF8C4F7C
	v_mfma_i32_16x16x32_i8 v[168:171], a[176:177], v[208:209], v[168:171]// 000000004214: D3D700A8 0EA3A1B0
	v_mfma_i32_16x16x32_i8 v[168:171], a[178:179], v[210:211], v[168:171]// 00000000421C: D3D700A8 0EA3A5B2
	buffer_load_dwordx4 a[80:83], v39, s[24:27], 0 offen       // 000000004224: E05C1000 80865027
	v_mfma_i32_16x16x32_i8 v[168:171], a[180:181], v[212:213], v[168:171]// 00000000422C: D3D700A8 0EA3A9B4
	v_mfma_i32_16x16x32_i8 v[168:171], a[182:183], v[214:215], v[168:171]// 000000004234: D3D700A8 0EA3ADB6
	v_mfma_i32_16x16x32_i8 v[168:171], a[184:185], v[216:217], v[168:171]// 00000000423C: D3D700A8 0EA3B1B8
	v_mfma_i32_16x16x32_i8 v[168:171], a[186:187], v[218:219], v[168:171]// 000000004244: D3D700A8 0EA3B5BA
	buffer_load_dwordx4 a[84:87], v39, s[24:27], 0 offen offset:1024// 00000000424C: E05C1400 80865427
	v_mfma_i32_16x16x32_i8 v[168:171], a[188:189], v[220:221], v[168:171]// 000000004254: D3D700A8 0EA3B9BC
	v_mfma_i32_16x16x32_i8 v[168:171], a[190:191], v[222:223], v[168:171]// 00000000425C: D3D700A8 0EA3BDBE
	v_mfma_i32_16x16x32_i8 v[172:175], a[176:177], v[224:225], v[172:175]// 000000004264: D3D700AC 0EB3C1B0
	v_mfma_i32_16x16x32_i8 v[172:175], a[178:179], v[226:227], v[172:175]// 00000000426C: D3D700AC 0EB3C5B2
	buffer_load_dwordx4 a[88:91], v39, s[24:27], 0 offen offset:2048// 000000004274: E05C1800 80865827
	v_mfma_i32_16x16x32_i8 v[172:175], a[180:181], v[228:229], v[172:175]// 00000000427C: D3D700AC 0EB3C9B4
	v_mfma_i32_16x16x32_i8 v[172:175], a[182:183], v[230:231], v[172:175]// 000000004284: D3D700AC 0EB3CDB6
	v_mfma_i32_16x16x32_i8 v[172:175], a[184:185], v[232:233], v[172:175]// 00000000428C: D3D700AC 0EB3D1B8
	v_mfma_i32_16x16x32_i8 v[172:175], a[186:187], v[234:235], v[172:175]// 000000004294: D3D700AC 0EB3D5BA
	buffer_load_dwordx4 a[92:95], v39, s[24:27], 0 offen offset:3072// 00000000429C: E05C1C00 80865C27
	v_mfma_i32_16x16x32_i8 v[172:175], a[188:189], v[236:237], v[172:175]// 0000000042A4: D3D700AC 0EB3D9BC
	v_mfma_i32_16x16x32_i8 v[172:175], a[190:191], v[238:239], v[172:175]// 0000000042AC: D3D700AC 0EB3DDBE
	s_add_u32 s60, 0x300, s80                                  // 0000000042B4: 803C50FF 00000300
	s_cmp_lt_u32 s60, s81                                      // 0000000042BC: BF0A513C
	s_cselect_b32 s57, s57, 0                                  // 0000000042C0: 85398039
	s_add_u32 s60, 0x200, s80                                  // 0000000042C4: 803C50FF 00000200
	s_cmp_lt_u32 s60, s81                                      // 0000000042CC: BF0A513C
	s_cselect_b32 s58, s58, 0                                  // 0000000042D0: 853A803A
	s_add_u32 s20, s57, s20                                    // 0000000042D4: 80141439
	s_addc_u32 s21, 0, s21                                     // 0000000042D8: 82151580
	s_add_u32 s24, s58, s24                                    // 0000000042DC: 8018183A
	s_addc_u32 s25, 0, s25                                     // 0000000042E0: 82191980
	s_addk_i32 s80, 0x100                                      // 0000000042E4: B7500100
	s_cmp_lt_i32 s80, s81                                      // 0000000042E8: BF045150
	s_cbranch_scc0 label_053D                                  // 0000000042EC: BF840001
	s_branch label_02D4                                        // 0000000042F0: BF82FD97

00000000000042f4 <label_053D>:
	s_mov_b32 s36, -1                                          // 0000000042F4: BEA400C1
	s_mov_b32 s37, -1                                          // 0000000042F8: BEA500C1
	s_mov_b64 s[60:61], 0                                      // 0000000042FC: BEBC0180
	s_cmp_lt_u32 s82, s66                                      // 000000004300: BF0A4252
	s_cselect_b64 s[20:21], s[36:37], s[60:61]                 // 000000004304: 85943C24
	s_cmp_lt_u32 s83, s66                                      // 000000004308: BF0A4253
	s_cselect_b64 s[22:23], s[36:37], s[60:61]                 // 00000000430C: 85963C24
	s_cmp_lt_u32 s84, s66                                      // 000000004310: BF0A4254
	s_cselect_b64 s[24:25], s[36:37], s[60:61]                 // 000000004314: 85983C24
	s_cmp_lt_u32 s85, s66                                      // 000000004318: BF0A4255
	s_cselect_b64 s[26:27], s[36:37], s[60:61]                 // 00000000431C: 859A3C24
	s_cmp_lt_u32 s86, s66                                      // 000000004320: BF0A4256
	s_cselect_b64 s[28:29], s[36:37], s[60:61]                 // 000000004324: 859C3C24
	s_cmp_lt_u32 s87, s66                                      // 000000004328: BF0A4257
	s_cselect_b64 s[30:31], s[36:37], s[60:61]                 // 00000000432C: 859E3C24
	s_cmp_lt_u32 s88, s66                                      // 000000004330: BF0A4258
	s_cselect_b64 s[32:33], s[36:37], s[60:61]                 // 000000004334: 85A03C24
	s_cmp_lt_u32 s89, s66                                      // 000000004338: BF0A4259
	s_cselect_b64 s[34:35], s[36:37], s[60:61]                 // 00000000433C: 85A23C24
	v_cvt_f32_i32_e32 v128, v128                               // 000000004340: 7F000B80
	v_cvt_f32_i32_e32 v129, v129                               // 000000004344: 7F020B81
	v_cvt_f32_i32_e32 v130, v130                               // 000000004348: 7F040B82
	v_cvt_f32_i32_e32 v131, v131                               // 00000000434C: 7F060B83
	v_mul_f32_e32 v128, v14, v128                              // 000000004350: 0B01010E
	v_mul_f32_e32 v129, v14, v129                              // 000000004354: 0B03030E
	v_mul_f32_e32 v130, v14, v130                              // 000000004358: 0B05050E
	v_mul_f32_e32 v131, v14, v131                              // 00000000435C: 0B07070E
	v_mul_f32_dpp v128, v16, v128 row_newbcast:0 row_mask:0xf bank_mask:0xf// 000000004360: 0B0100FA FF015010
	v_mul_f32_dpp v129, v16, v129 row_newbcast:1 row_mask:0xf bank_mask:0xf// 000000004368: 0B0302FA FF015110
	v_mul_f32_dpp v130, v16, v130 row_newbcast:2 row_mask:0xf bank_mask:0xf// 000000004370: 0B0504FA FF015210
	v_mul_f32_dpp v131, v16, v131 row_newbcast:3 row_mask:0xf bank_mask:0xf// 000000004378: 0B0706FA FF015310
	v_cvt_f32_i32_e32 v132, v132                               // 000000004380: 7F080B84
	v_cvt_f32_i32_e32 v133, v133                               // 000000004384: 7F0A0B85
	v_cvt_f32_i32_e32 v134, v134                               // 000000004388: 7F0C0B86
	v_cvt_f32_i32_e32 v135, v135                               // 00000000438C: 7F0E0B87
	v_mul_f32_e32 v132, v15, v132                              // 000000004390: 0B09090F
	v_mul_f32_e32 v133, v15, v133                              // 000000004394: 0B0B0B0F
	v_mul_f32_e32 v134, v15, v134                              // 000000004398: 0B0D0D0F
	v_mul_f32_e32 v135, v15, v135                              // 00000000439C: 0B0F0F0F
	v_mul_f32_dpp v132, v16, v132 row_newbcast:0 row_mask:0xf bank_mask:0xf// 0000000043A0: 0B0908FA FF015010
	v_mul_f32_dpp v133, v16, v133 row_newbcast:1 row_mask:0xf bank_mask:0xf// 0000000043A8: 0B0B0AFA FF015110
	v_mul_f32_dpp v134, v16, v134 row_newbcast:2 row_mask:0xf bank_mask:0xf// 0000000043B0: 0B0D0CFA FF015210
	v_mul_f32_dpp v135, v16, v135 row_newbcast:3 row_mask:0xf bank_mask:0xf// 0000000043B8: 0B0F0EFA FF015310
	v_cvt_f32_i32_e32 v136, v136                               // 0000000043C0: 7F100B88
	v_cvt_f32_i32_e32 v137, v137                               // 0000000043C4: 7F120B89
	v_cvt_f32_i32_e32 v138, v138                               // 0000000043C8: 7F140B8A
	v_cvt_f32_i32_e32 v139, v139                               // 0000000043CC: 7F160B8B
	v_mul_f32_e32 v136, v14, v136                              // 0000000043D0: 0B11110E
	v_mul_f32_e32 v137, v14, v137                              // 0000000043D4: 0B13130E
	v_mul_f32_e32 v138, v14, v138                              // 0000000043D8: 0B15150E
	v_mul_f32_e32 v139, v14, v139                              // 0000000043DC: 0B17170E
	v_mul_f32_dpp v136, v16, v136 row_newbcast:4 row_mask:0xf bank_mask:0xf// 0000000043E0: 0B1110FA FF015410
	v_mul_f32_dpp v137, v16, v137 row_newbcast:5 row_mask:0xf bank_mask:0xf// 0000000043E8: 0B1312FA FF015510
	v_mul_f32_dpp v138, v16, v138 row_newbcast:6 row_mask:0xf bank_mask:0xf// 0000000043F0: 0B1514FA FF015610
	v_mul_f32_dpp v139, v16, v139 row_newbcast:7 row_mask:0xf bank_mask:0xf// 0000000043F8: 0B1716FA FF015710
	v_cvt_f32_i32_e32 v140, v140                               // 000000004400: 7F180B8C
	v_cvt_f32_i32_e32 v141, v141                               // 000000004404: 7F1A0B8D
	v_cvt_f32_i32_e32 v142, v142                               // 000000004408: 7F1C0B8E
	v_cvt_f32_i32_e32 v143, v143                               // 00000000440C: 7F1E0B8F
	v_mul_f32_e32 v140, v15, v140                              // 000000004410: 0B19190F
	v_mul_f32_e32 v141, v15, v141                              // 000000004414: 0B1B1B0F
	v_mul_f32_e32 v142, v15, v142                              // 000000004418: 0B1D1D0F
	v_mul_f32_e32 v143, v15, v143                              // 00000000441C: 0B1F1F0F
	v_mul_f32_dpp v140, v16, v140 row_newbcast:4 row_mask:0xf bank_mask:0xf// 000000004420: 0B1918FA FF015410
	v_mul_f32_dpp v141, v16, v141 row_newbcast:5 row_mask:0xf bank_mask:0xf// 000000004428: 0B1B1AFA FF015510
	v_mul_f32_dpp v142, v16, v142 row_newbcast:6 row_mask:0xf bank_mask:0xf// 000000004430: 0B1D1CFA FF015610
	v_mul_f32_dpp v143, v16, v143 row_newbcast:7 row_mask:0xf bank_mask:0xf// 000000004438: 0B1F1EFA FF015710
	v_cvt_f32_i32_e32 v144, v144                               // 000000004440: 7F200B90
	v_cvt_f32_i32_e32 v145, v145                               // 000000004444: 7F220B91
	v_cvt_f32_i32_e32 v146, v146                               // 000000004448: 7F240B92
	v_cvt_f32_i32_e32 v147, v147                               // 00000000444C: 7F260B93
	v_mul_f32_e32 v144, v14, v144                              // 000000004450: 0B21210E
	v_mul_f32_e32 v145, v14, v145                              // 000000004454: 0B23230E
	v_mul_f32_e32 v146, v14, v146                              // 000000004458: 0B25250E
	v_mul_f32_e32 v147, v14, v147                              // 00000000445C: 0B27270E
	v_mul_f32_dpp v144, v16, v144 row_newbcast:8 row_mask:0xf bank_mask:0xf// 000000004460: 0B2120FA FF015810
	v_mul_f32_dpp v145, v16, v145 row_newbcast:9 row_mask:0xf bank_mask:0xf// 000000004468: 0B2322FA FF015910
	v_mul_f32_dpp v146, v16, v146 row_newbcast:10 row_mask:0xf bank_mask:0xf// 000000004470: 0B2524FA FF015A10
	v_mul_f32_dpp v147, v16, v147 row_newbcast:11 row_mask:0xf bank_mask:0xf// 000000004478: 0B2726FA FF015B10
	v_cvt_f32_i32_e32 v148, v148                               // 000000004480: 7F280B94
	v_cvt_f32_i32_e32 v149, v149                               // 000000004484: 7F2A0B95
	v_cvt_f32_i32_e32 v150, v150                               // 000000004488: 7F2C0B96
	v_cvt_f32_i32_e32 v151, v151                               // 00000000448C: 7F2E0B97
	v_mul_f32_e32 v148, v15, v148                              // 000000004490: 0B29290F
	v_mul_f32_e32 v149, v15, v149                              // 000000004494: 0B2B2B0F
	v_mul_f32_e32 v150, v15, v150                              // 000000004498: 0B2D2D0F
	v_mul_f32_e32 v151, v15, v151                              // 00000000449C: 0B2F2F0F
	v_mul_f32_dpp v148, v16, v148 row_newbcast:8 row_mask:0xf bank_mask:0xf// 0000000044A0: 0B2928FA FF015810
	v_mul_f32_dpp v149, v16, v149 row_newbcast:9 row_mask:0xf bank_mask:0xf// 0000000044A8: 0B2B2AFA FF015910
	v_mul_f32_dpp v150, v16, v150 row_newbcast:10 row_mask:0xf bank_mask:0xf// 0000000044B0: 0B2D2CFA FF015A10
	v_mul_f32_dpp v151, v16, v151 row_newbcast:11 row_mask:0xf bank_mask:0xf// 0000000044B8: 0B2F2EFA FF015B10
	v_cvt_f32_i32_e32 v152, v152                               // 0000000044C0: 7F300B98
	v_cvt_f32_i32_e32 v153, v153                               // 0000000044C4: 7F320B99
	v_cvt_f32_i32_e32 v154, v154                               // 0000000044C8: 7F340B9A
	v_cvt_f32_i32_e32 v155, v155                               // 0000000044CC: 7F360B9B
	v_mul_f32_e32 v152, v14, v152                              // 0000000044D0: 0B31310E
	v_mul_f32_e32 v153, v14, v153                              // 0000000044D4: 0B33330E
	v_mul_f32_e32 v154, v14, v154                              // 0000000044D8: 0B35350E
	v_mul_f32_e32 v155, v14, v155                              // 0000000044DC: 0B37370E
	v_mul_f32_dpp v152, v16, v152 row_newbcast:12 row_mask:0xf bank_mask:0xf// 0000000044E0: 0B3130FA FF015C10
	v_mul_f32_dpp v153, v16, v153 row_newbcast:13 row_mask:0xf bank_mask:0xf// 0000000044E8: 0B3332FA FF015D10
	v_mul_f32_dpp v154, v16, v154 row_newbcast:14 row_mask:0xf bank_mask:0xf// 0000000044F0: 0B3534FA FF015E10
	v_mul_f32_dpp v155, v16, v155 row_newbcast:15 row_mask:0xf bank_mask:0xf// 0000000044F8: 0B3736FA FF015F10
	v_cvt_f32_i32_e32 v156, v156                               // 000000004500: 7F380B9C
	v_cvt_f32_i32_e32 v157, v157                               // 000000004504: 7F3A0B9D
	v_cvt_f32_i32_e32 v158, v158                               // 000000004508: 7F3C0B9E
	v_cvt_f32_i32_e32 v159, v159                               // 00000000450C: 7F3E0B9F
	v_mul_f32_e32 v156, v15, v156                              // 000000004510: 0B39390F
	v_mul_f32_e32 v157, v15, v157                              // 000000004514: 0B3B3B0F
	v_mul_f32_e32 v158, v15, v158                              // 000000004518: 0B3D3D0F
	v_mul_f32_e32 v159, v15, v159                              // 00000000451C: 0B3F3F0F
	v_mul_f32_dpp v156, v16, v156 row_newbcast:12 row_mask:0xf bank_mask:0xf// 000000004520: 0B3938FA FF015C10
	v_mul_f32_dpp v157, v16, v157 row_newbcast:13 row_mask:0xf bank_mask:0xf// 000000004528: 0B3B3AFA FF015D10
	v_mul_f32_dpp v158, v16, v158 row_newbcast:14 row_mask:0xf bank_mask:0xf// 000000004530: 0B3D3CFA FF015E10
	v_mul_f32_dpp v159, v16, v159 row_newbcast:15 row_mask:0xf bank_mask:0xf// 000000004538: 0B3F3EFA FF015F10
	v_cvt_f32_i32_e32 v160, v160                               // 000000004540: 7F400BA0
	v_cvt_f32_i32_e32 v161, v161                               // 000000004544: 7F420BA1
	v_cvt_f32_i32_e32 v162, v162                               // 000000004548: 7F440BA2
	v_cvt_f32_i32_e32 v163, v163                               // 00000000454C: 7F460BA3
	v_mul_f32_e32 v160, v14, v160                              // 000000004550: 0B41410E
	v_mul_f32_e32 v161, v14, v161                              // 000000004554: 0B43430E
	v_mul_f32_e32 v162, v14, v162                              // 000000004558: 0B45450E
	v_mul_f32_e32 v163, v14, v163                              // 00000000455C: 0B47470E
	v_mul_f32_dpp v160, v17, v160 row_newbcast:0 row_mask:0xf bank_mask:0xf// 000000004560: 0B4140FA FF015011
	v_mul_f32_dpp v161, v17, v161 row_newbcast:1 row_mask:0xf bank_mask:0xf// 000000004568: 0B4342FA FF015111
	v_mul_f32_dpp v162, v17, v162 row_newbcast:2 row_mask:0xf bank_mask:0xf// 000000004570: 0B4544FA FF015211
	v_mul_f32_dpp v163, v17, v163 row_newbcast:3 row_mask:0xf bank_mask:0xf// 000000004578: 0B4746FA FF015311
	v_cvt_f32_i32_e32 v164, v164                               // 000000004580: 7F480BA4
	v_cvt_f32_i32_e32 v165, v165                               // 000000004584: 7F4A0BA5
	v_cvt_f32_i32_e32 v166, v166                               // 000000004588: 7F4C0BA6
	v_cvt_f32_i32_e32 v167, v167                               // 00000000458C: 7F4E0BA7
	v_mul_f32_e32 v164, v15, v164                              // 000000004590: 0B49490F
	v_mul_f32_e32 v165, v15, v165                              // 000000004594: 0B4B4B0F
	v_mul_f32_e32 v166, v15, v166                              // 000000004598: 0B4D4D0F
	v_mul_f32_e32 v167, v15, v167                              // 00000000459C: 0B4F4F0F
	v_mul_f32_dpp v164, v17, v164 row_newbcast:0 row_mask:0xf bank_mask:0xf// 0000000045A0: 0B4948FA FF015011
	v_mul_f32_dpp v165, v17, v165 row_newbcast:1 row_mask:0xf bank_mask:0xf// 0000000045A8: 0B4B4AFA FF015111
	v_mul_f32_dpp v166, v17, v166 row_newbcast:2 row_mask:0xf bank_mask:0xf// 0000000045B0: 0B4D4CFA FF015211
	v_mul_f32_dpp v167, v17, v167 row_newbcast:3 row_mask:0xf bank_mask:0xf// 0000000045B8: 0B4F4EFA FF015311
	v_cvt_f32_i32_e32 v168, v168                               // 0000000045C0: 7F500BA8
	v_cvt_f32_i32_e32 v169, v169                               // 0000000045C4: 7F520BA9
	v_cvt_f32_i32_e32 v170, v170                               // 0000000045C8: 7F540BAA
	v_cvt_f32_i32_e32 v171, v171                               // 0000000045CC: 7F560BAB
	v_mul_f32_e32 v168, v14, v168                              // 0000000045D0: 0B51510E
	v_mul_f32_e32 v169, v14, v169                              // 0000000045D4: 0B53530E
	v_mul_f32_e32 v170, v14, v170                              // 0000000045D8: 0B55550E
	v_mul_f32_e32 v171, v14, v171                              // 0000000045DC: 0B57570E
	v_mul_f32_dpp v168, v17, v168 row_newbcast:4 row_mask:0xf bank_mask:0xf// 0000000045E0: 0B5150FA FF015411
	v_mul_f32_dpp v169, v17, v169 row_newbcast:5 row_mask:0xf bank_mask:0xf// 0000000045E8: 0B5352FA FF015511
	v_mul_f32_dpp v170, v17, v170 row_newbcast:6 row_mask:0xf bank_mask:0xf// 0000000045F0: 0B5554FA FF015611
	v_mul_f32_dpp v171, v17, v171 row_newbcast:7 row_mask:0xf bank_mask:0xf// 0000000045F8: 0B5756FA FF015711
	v_cvt_f32_i32_e32 v172, v172                               // 000000004600: 7F580BAC
	v_cvt_f32_i32_e32 v173, v173                               // 000000004604: 7F5A0BAD
	v_cvt_f32_i32_e32 v174, v174                               // 000000004608: 7F5C0BAE
	v_cvt_f32_i32_e32 v175, v175                               // 00000000460C: 7F5E0BAF
	v_mul_f32_e32 v172, v15, v172                              // 000000004610: 0B59590F
	v_mul_f32_e32 v173, v15, v173                              // 000000004614: 0B5B5B0F
	v_mul_f32_e32 v174, v15, v174                              // 000000004618: 0B5D5D0F
	v_mul_f32_e32 v175, v15, v175                              // 00000000461C: 0B5F5F0F
	v_mul_f32_dpp v172, v17, v172 row_newbcast:4 row_mask:0xf bank_mask:0xf// 000000004620: 0B5958FA FF015411
	v_mul_f32_dpp v173, v17, v173 row_newbcast:5 row_mask:0xf bank_mask:0xf// 000000004628: 0B5B5AFA FF015511
	v_mul_f32_dpp v174, v17, v174 row_newbcast:6 row_mask:0xf bank_mask:0xf// 000000004630: 0B5D5CFA FF015611
	v_mul_f32_dpp v175, v17, v175 row_newbcast:7 row_mask:0xf bank_mask:0xf// 000000004638: 0B5F5EFA FF015711
	s_waitcnt vmcnt(20)                                        // 000000004640: BF8C4F74
	buffer_load_dwordx4 a[0:3], v40, s[12:15], 0 offen         // 000000004644: E05C1000 80830028
	v_mul_f32_e64 v48, -v128, s6                               // 00000000464C: D1050030 20000D80
	v_mul_f32_e64 v49, -v129, s6                               // 000000004654: D1050031 20000D81
	v_mul_f32_e64 v50, -v130, s6                               // 00000000465C: D1050032 20000D82
	v_mul_f32_e64 v51, -v131, s6                               // 000000004664: D1050033 20000D83
	v_exp_f32_e32 v48, v48                                     // 00000000466C: 7E604130
	v_exp_f32_e32 v49, v49                                     // 000000004670: 7E624131
	v_exp_f32_e32 v50, v50                                     // 000000004674: 7E644132
	v_exp_f32_e32 v51, v51                                     // 000000004678: 7E664133
	buffer_load_dwordx4 a[4:7], v41, s[12:15], 0 offen         // 00000000467C: E05C1000 80830429
	v_add_f32_e64 v48, v48, 1.0                                // 000000004684: D1010030 0001E530
	v_add_f32_e64 v49, v49, 1.0                                // 00000000468C: D1010031 0001E531
	v_add_f32_e64 v50, v50, 1.0                                // 000000004694: D1010032 0001E532
	v_add_f32_e64 v51, v51, 1.0                                // 00000000469C: D1010033 0001E533
	v_rcp_f32_e32 v48, v48                                     // 0000000046A4: 7E604530
	v_rcp_f32_e32 v49, v49                                     // 0000000046A8: 7E624531
	v_rcp_f32_e32 v50, v50                                     // 0000000046AC: 7E644532
	v_rcp_f32_e32 v51, v51                                     // 0000000046B0: 7E664533
	v_mul_f32_e32 v128, v128, v48                              // 0000000046B4: 0B006180
	v_mul_f32_e32 v129, v129, v49                              // 0000000046B8: 0B026381
	v_mul_f32_e32 v130, v130, v50                              // 0000000046BC: 0B046582
	v_mul_f32_e32 v131, v131, v51                              // 0000000046C0: 0B066783
	buffer_load_dwordx4 a[8:11], v42, s[12:15], 0 offen        // 0000000046C4: E05C1000 8083082A
	v_mul_f32_e64 v48, -v132, s6                               // 0000000046CC: D1050030 20000D84
	v_mul_f32_e64 v49, -v133, s6                               // 0000000046D4: D1050031 20000D85
	v_mul_f32_e64 v50, -v134, s6                               // 0000000046DC: D1050032 20000D86
	v_mul_f32_e64 v51, -v135, s6                               // 0000000046E4: D1050033 20000D87
	v_exp_f32_e32 v48, v48                                     // 0000000046EC: 7E604130
	v_exp_f32_e32 v49, v49                                     // 0000000046F0: 7E624131
	v_exp_f32_e32 v50, v50                                     // 0000000046F4: 7E644132
	v_exp_f32_e32 v51, v51                                     // 0000000046F8: 7E664133
	buffer_load_dwordx4 a[12:15], v43, s[12:15], 0 offen       // 0000000046FC: E05C1000 80830C2B
	s_add_u32 s12, s78, s12                                    // 000000004704: 800C0C4E
	s_addc_u32 s13, 0, s13                                     // 000000004708: 820D0D80
	v_add_f32_e64 v48, v48, 1.0                                // 00000000470C: D1010030 0001E530
	v_add_f32_e64 v49, v49, 1.0                                // 000000004714: D1010031 0001E531
	v_add_f32_e64 v50, v50, 1.0                                // 00000000471C: D1010032 0001E532
	v_add_f32_e64 v51, v51, 1.0                                // 000000004724: D1010033 0001E533
	v_rcp_f32_e32 v48, v48                                     // 00000000472C: 7E604530
	v_rcp_f32_e32 v49, v49                                     // 000000004730: 7E624531
	v_rcp_f32_e32 v50, v50                                     // 000000004734: 7E644532
	v_rcp_f32_e32 v51, v51                                     // 000000004738: 7E664533
	v_mul_f32_e32 v132, v132, v48                              // 00000000473C: 0B086184
	v_mul_f32_e32 v133, v133, v49                              // 000000004740: 0B0A6385
	v_mul_f32_e32 v134, v134, v50                              // 000000004744: 0B0C6586
	v_mul_f32_e32 v135, v135, v51                              // 000000004748: 0B0E6787
	s_waitcnt vmcnt(20)                                        // 00000000474C: BF8C4F74
	buffer_load_dwordx4 a[16:19], v40, s[12:15], 0 offen       // 000000004750: E05C1000 80831028
	v_mul_f32_e64 v48, -v136, s6                               // 000000004758: D1050030 20000D88
	v_mul_f32_e64 v49, -v137, s6                               // 000000004760: D1050031 20000D89
	v_mul_f32_e64 v50, -v138, s6                               // 000000004768: D1050032 20000D8A
	v_mul_f32_e64 v51, -v139, s6                               // 000000004770: D1050033 20000D8B
	v_exp_f32_e32 v48, v48                                     // 000000004778: 7E604130
	v_exp_f32_e32 v49, v49                                     // 00000000477C: 7E624131
	v_exp_f32_e32 v50, v50                                     // 000000004780: 7E644132
	v_exp_f32_e32 v51, v51                                     // 000000004784: 7E664133
	buffer_load_dwordx4 a[20:23], v41, s[12:15], 0 offen       // 000000004788: E05C1000 80831429
	v_add_f32_e64 v48, v48, 1.0                                // 000000004790: D1010030 0001E530
	v_add_f32_e64 v49, v49, 1.0                                // 000000004798: D1010031 0001E531
	v_add_f32_e64 v50, v50, 1.0                                // 0000000047A0: D1010032 0001E532
	v_add_f32_e64 v51, v51, 1.0                                // 0000000047A8: D1010033 0001E533
	v_rcp_f32_e32 v48, v48                                     // 0000000047B0: 7E604530
	v_rcp_f32_e32 v49, v49                                     // 0000000047B4: 7E624531
	v_rcp_f32_e32 v50, v50                                     // 0000000047B8: 7E644532
	v_rcp_f32_e32 v51, v51                                     // 0000000047BC: 7E664533
	v_mul_f32_e32 v136, v136, v48                              // 0000000047C0: 0B106188
	v_mul_f32_e32 v137, v137, v49                              // 0000000047C4: 0B126389
	v_mul_f32_e32 v138, v138, v50                              // 0000000047C8: 0B14658A
	v_mul_f32_e32 v139, v139, v51                              // 0000000047CC: 0B16678B
	buffer_load_dwordx4 a[24:27], v42, s[12:15], 0 offen       // 0000000047D0: E05C1000 8083182A
	v_mul_f32_e64 v48, -v140, s6                               // 0000000047D8: D1050030 20000D8C
	v_mul_f32_e64 v49, -v141, s6                               // 0000000047E0: D1050031 20000D8D
	v_mul_f32_e64 v50, -v142, s6                               // 0000000047E8: D1050032 20000D8E
	v_mul_f32_e64 v51, -v143, s6                               // 0000000047F0: D1050033 20000D8F
	v_exp_f32_e32 v48, v48                                     // 0000000047F8: 7E604130
	v_exp_f32_e32 v49, v49                                     // 0000000047FC: 7E624131
	v_exp_f32_e32 v50, v50                                     // 000000004800: 7E644132
	v_exp_f32_e32 v51, v51                                     // 000000004804: 7E664133
	buffer_load_dwordx4 a[28:31], v43, s[12:15], 0 offen       // 000000004808: E05C1000 80831C2B
	s_add_u32 s12, s78, s12                                    // 000000004810: 800C0C4E
	s_addc_u32 s13, 0, s13                                     // 000000004814: 820D0D80
	v_add_f32_e64 v48, v48, 1.0                                // 000000004818: D1010030 0001E530
	v_add_f32_e64 v49, v49, 1.0                                // 000000004820: D1010031 0001E531
	v_add_f32_e64 v50, v50, 1.0                                // 000000004828: D1010032 0001E532
	v_add_f32_e64 v51, v51, 1.0                                // 000000004830: D1010033 0001E533
	v_rcp_f32_e32 v48, v48                                     // 000000004838: 7E604530
	v_rcp_f32_e32 v49, v49                                     // 00000000483C: 7E624531
	v_rcp_f32_e32 v50, v50                                     // 000000004840: 7E644532
	v_rcp_f32_e32 v51, v51                                     // 000000004844: 7E664533
	v_mul_f32_e32 v140, v140, v48                              // 000000004848: 0B18618C
	v_mul_f32_e32 v141, v141, v49                              // 00000000484C: 0B1A638D
	v_mul_f32_e32 v142, v142, v50                              // 000000004850: 0B1C658E
	v_mul_f32_e32 v143, v143, v51                              // 000000004854: 0B1E678F
	s_waitcnt vmcnt(20)                                        // 000000004858: BF8C4F74
	buffer_load_dwordx4 a[32:35], v40, s[12:15], 0 offen       // 00000000485C: E05C1000 80832028
	v_mul_f32_e64 v48, -v144, s6                               // 000000004864: D1050030 20000D90
	v_mul_f32_e64 v49, -v145, s6                               // 00000000486C: D1050031 20000D91
	v_mul_f32_e64 v50, -v146, s6                               // 000000004874: D1050032 20000D92
	v_mul_f32_e64 v51, -v147, s6                               // 00000000487C: D1050033 20000D93
	v_exp_f32_e32 v48, v48                                     // 000000004884: 7E604130
	v_exp_f32_e32 v49, v49                                     // 000000004888: 7E624131
	v_exp_f32_e32 v50, v50                                     // 00000000488C: 7E644132
	v_exp_f32_e32 v51, v51                                     // 000000004890: 7E664133
	buffer_load_dwordx4 a[36:39], v41, s[12:15], 0 offen       // 000000004894: E05C1000 80832429
	v_add_f32_e64 v48, v48, 1.0                                // 00000000489C: D1010030 0001E530
	v_add_f32_e64 v49, v49, 1.0                                // 0000000048A4: D1010031 0001E531
	v_add_f32_e64 v50, v50, 1.0                                // 0000000048AC: D1010032 0001E532
	v_add_f32_e64 v51, v51, 1.0                                // 0000000048B4: D1010033 0001E533
	v_rcp_f32_e32 v48, v48                                     // 0000000048BC: 7E604530
	v_rcp_f32_e32 v49, v49                                     // 0000000048C0: 7E624531
	v_rcp_f32_e32 v50, v50                                     // 0000000048C4: 7E644532
	v_rcp_f32_e32 v51, v51                                     // 0000000048C8: 7E664533
	v_mul_f32_e32 v144, v144, v48                              // 0000000048CC: 0B206190
	v_mul_f32_e32 v145, v145, v49                              // 0000000048D0: 0B226391
	v_mul_f32_e32 v146, v146, v50                              // 0000000048D4: 0B246592
	v_mul_f32_e32 v147, v147, v51                              // 0000000048D8: 0B266793
	buffer_load_dwordx4 a[40:43], v42, s[12:15], 0 offen       // 0000000048DC: E05C1000 8083282A
	v_mul_f32_e64 v48, -v148, s6                               // 0000000048E4: D1050030 20000D94
	v_mul_f32_e64 v49, -v149, s6                               // 0000000048EC: D1050031 20000D95
	v_mul_f32_e64 v50, -v150, s6                               // 0000000048F4: D1050032 20000D96
	v_mul_f32_e64 v51, -v151, s6                               // 0000000048FC: D1050033 20000D97
	v_exp_f32_e32 v48, v48                                     // 000000004904: 7E604130
	v_exp_f32_e32 v49, v49                                     // 000000004908: 7E624131
	v_exp_f32_e32 v50, v50                                     // 00000000490C: 7E644132
	v_exp_f32_e32 v51, v51                                     // 000000004910: 7E664133
	buffer_load_dwordx4 a[44:47], v43, s[12:15], 0 offen       // 000000004914: E05C1000 80832C2B
	s_add_u32 s12, s78, s12                                    // 00000000491C: 800C0C4E
	s_addc_u32 s13, 0, s13                                     // 000000004920: 820D0D80
	v_add_f32_e64 v48, v48, 1.0                                // 000000004924: D1010030 0001E530
	v_add_f32_e64 v49, v49, 1.0                                // 00000000492C: D1010031 0001E531
	v_add_f32_e64 v50, v50, 1.0                                // 000000004934: D1010032 0001E532
	v_add_f32_e64 v51, v51, 1.0                                // 00000000493C: D1010033 0001E533
	v_rcp_f32_e32 v48, v48                                     // 000000004944: 7E604530
	v_rcp_f32_e32 v49, v49                                     // 000000004948: 7E624531
	v_rcp_f32_e32 v50, v50                                     // 00000000494C: 7E644532
	v_rcp_f32_e32 v51, v51                                     // 000000004950: 7E664533
	v_mul_f32_e32 v148, v148, v48                              // 000000004954: 0B286194
	v_mul_f32_e32 v149, v149, v49                              // 000000004958: 0B2A6395
	v_mul_f32_e32 v150, v150, v50                              // 00000000495C: 0B2C6596
	v_mul_f32_e32 v151, v151, v51                              // 000000004960: 0B2E6797
	s_waitcnt vmcnt(20)                                        // 000000004964: BF8C4F74
	buffer_load_dwordx4 a[48:51], v40, s[12:15], 0 offen       // 000000004968: E05C1000 80833028
	v_mul_f32_e64 v48, -v152, s6                               // 000000004970: D1050030 20000D98
	v_mul_f32_e64 v49, -v153, s6                               // 000000004978: D1050031 20000D99
	v_mul_f32_e64 v50, -v154, s6                               // 000000004980: D1050032 20000D9A
	v_mul_f32_e64 v51, -v155, s6                               // 000000004988: D1050033 20000D9B
	v_exp_f32_e32 v48, v48                                     // 000000004990: 7E604130
	v_exp_f32_e32 v49, v49                                     // 000000004994: 7E624131
	v_exp_f32_e32 v50, v50                                     // 000000004998: 7E644132
	v_exp_f32_e32 v51, v51                                     // 00000000499C: 7E664133
	buffer_load_dwordx4 a[52:55], v41, s[12:15], 0 offen       // 0000000049A0: E05C1000 80833429
	v_add_f32_e64 v48, v48, 1.0                                // 0000000049A8: D1010030 0001E530
	v_add_f32_e64 v49, v49, 1.0                                // 0000000049B0: D1010031 0001E531
	v_add_f32_e64 v50, v50, 1.0                                // 0000000049B8: D1010032 0001E532
	v_add_f32_e64 v51, v51, 1.0                                // 0000000049C0: D1010033 0001E533
	v_rcp_f32_e32 v48, v48                                     // 0000000049C8: 7E604530
	v_rcp_f32_e32 v49, v49                                     // 0000000049CC: 7E624531
	v_rcp_f32_e32 v50, v50                                     // 0000000049D0: 7E644532
	v_rcp_f32_e32 v51, v51                                     // 0000000049D4: 7E664533
	v_mul_f32_e32 v152, v152, v48                              // 0000000049D8: 0B306198
	v_mul_f32_e32 v153, v153, v49                              // 0000000049DC: 0B326399
	v_mul_f32_e32 v154, v154, v50                              // 0000000049E0: 0B34659A
	v_mul_f32_e32 v155, v155, v51                              // 0000000049E4: 0B36679B
	buffer_load_dwordx4 a[56:59], v42, s[12:15], 0 offen       // 0000000049E8: E05C1000 8083382A
	v_mul_f32_e64 v48, -v156, s6                               // 0000000049F0: D1050030 20000D9C
	v_mul_f32_e64 v49, -v157, s6                               // 0000000049F8: D1050031 20000D9D
	v_mul_f32_e64 v50, -v158, s6                               // 000000004A00: D1050032 20000D9E
	v_mul_f32_e64 v51, -v159, s6                               // 000000004A08: D1050033 20000D9F
	v_exp_f32_e32 v48, v48                                     // 000000004A10: 7E604130
	v_exp_f32_e32 v49, v49                                     // 000000004A14: 7E624131
	v_exp_f32_e32 v50, v50                                     // 000000004A18: 7E644132
	v_exp_f32_e32 v51, v51                                     // 000000004A1C: 7E664133
	buffer_load_dwordx4 a[60:63], v43, s[12:15], 0 offen       // 000000004A20: E05C1000 80833C2B
	s_add_u32 s12, s78, s12                                    // 000000004A28: 800C0C4E
	s_addc_u32 s13, 0, s13                                     // 000000004A2C: 820D0D80
	v_add_f32_e64 v48, v48, 1.0                                // 000000004A30: D1010030 0001E530
	v_add_f32_e64 v49, v49, 1.0                                // 000000004A38: D1010031 0001E531
	v_add_f32_e64 v50, v50, 1.0                                // 000000004A40: D1010032 0001E532
	v_add_f32_e64 v51, v51, 1.0                                // 000000004A48: D1010033 0001E533
	v_rcp_f32_e32 v48, v48                                     // 000000004A50: 7E604530
	v_rcp_f32_e32 v49, v49                                     // 000000004A54: 7E624531
	v_rcp_f32_e32 v50, v50                                     // 000000004A58: 7E644532
	v_rcp_f32_e32 v51, v51                                     // 000000004A5C: 7E664533
	v_mul_f32_e32 v156, v156, v48                              // 000000004A60: 0B38619C
	v_mul_f32_e32 v157, v157, v49                              // 000000004A64: 0B3A639D
	v_mul_f32_e32 v158, v158, v50                              // 000000004A68: 0B3C659E
	v_mul_f32_e32 v159, v159, v51                              // 000000004A6C: 0B3E679F
	s_waitcnt vmcnt(20)                                        // 000000004A70: BF8C4F74
	buffer_load_dwordx4 a[64:67], v40, s[12:15], 0 offen       // 000000004A74: E05C1000 80834028
	v_mul_f32_e64 v48, -v160, s6                               // 000000004A7C: D1050030 20000DA0
	v_mul_f32_e64 v49, -v161, s6                               // 000000004A84: D1050031 20000DA1
	v_mul_f32_e64 v50, -v162, s6                               // 000000004A8C: D1050032 20000DA2
	v_mul_f32_e64 v51, -v163, s6                               // 000000004A94: D1050033 20000DA3
	v_exp_f32_e32 v48, v48                                     // 000000004A9C: 7E604130
	v_exp_f32_e32 v49, v49                                     // 000000004AA0: 7E624131
	v_exp_f32_e32 v50, v50                                     // 000000004AA4: 7E644132
	v_exp_f32_e32 v51, v51                                     // 000000004AA8: 7E664133
	buffer_load_dwordx4 a[68:71], v41, s[12:15], 0 offen       // 000000004AAC: E05C1000 80834429
	v_add_f32_e64 v48, v48, 1.0                                // 000000004AB4: D1010030 0001E530
	v_add_f32_e64 v49, v49, 1.0                                // 000000004ABC: D1010031 0001E531
	v_add_f32_e64 v50, v50, 1.0                                // 000000004AC4: D1010032 0001E532
	v_add_f32_e64 v51, v51, 1.0                                // 000000004ACC: D1010033 0001E533
	v_rcp_f32_e32 v48, v48                                     // 000000004AD4: 7E604530
	v_rcp_f32_e32 v49, v49                                     // 000000004AD8: 7E624531
	v_rcp_f32_e32 v50, v50                                     // 000000004ADC: 7E644532
	v_rcp_f32_e32 v51, v51                                     // 000000004AE0: 7E664533
	v_mul_f32_e32 v160, v160, v48                              // 000000004AE4: 0B4061A0
	v_mul_f32_e32 v161, v161, v49                              // 000000004AE8: 0B4263A1
	v_mul_f32_e32 v162, v162, v50                              // 000000004AEC: 0B4465A2
	v_mul_f32_e32 v163, v163, v51                              // 000000004AF0: 0B4667A3
	buffer_load_dwordx4 a[72:75], v42, s[12:15], 0 offen       // 000000004AF4: E05C1000 8083482A
	v_mul_f32_e64 v48, -v164, s6                               // 000000004AFC: D1050030 20000DA4
	v_mul_f32_e64 v49, -v165, s6                               // 000000004B04: D1050031 20000DA5
	v_mul_f32_e64 v50, -v166, s6                               // 000000004B0C: D1050032 20000DA6
	v_mul_f32_e64 v51, -v167, s6                               // 000000004B14: D1050033 20000DA7
	v_exp_f32_e32 v48, v48                                     // 000000004B1C: 7E604130
	v_exp_f32_e32 v49, v49                                     // 000000004B20: 7E624131
	v_exp_f32_e32 v50, v50                                     // 000000004B24: 7E644132
	v_exp_f32_e32 v51, v51                                     // 000000004B28: 7E664133
	buffer_load_dwordx4 a[76:79], v43, s[12:15], 0 offen       // 000000004B2C: E05C1000 80834C2B
	s_add_u32 s12, s78, s12                                    // 000000004B34: 800C0C4E
	s_addc_u32 s13, 0, s13                                     // 000000004B38: 820D0D80
	v_add_f32_e64 v48, v48, 1.0                                // 000000004B3C: D1010030 0001E530
	v_add_f32_e64 v49, v49, 1.0                                // 000000004B44: D1010031 0001E531
	v_add_f32_e64 v50, v50, 1.0                                // 000000004B4C: D1010032 0001E532
	v_add_f32_e64 v51, v51, 1.0                                // 000000004B54: D1010033 0001E533
	v_rcp_f32_e32 v48, v48                                     // 000000004B5C: 7E604530
	v_rcp_f32_e32 v49, v49                                     // 000000004B60: 7E624531
	v_rcp_f32_e32 v50, v50                                     // 000000004B64: 7E644532
	v_rcp_f32_e32 v51, v51                                     // 000000004B68: 7E664533
	v_mul_f32_e32 v164, v164, v48                              // 000000004B6C: 0B4861A4
	v_mul_f32_e32 v165, v165, v49                              // 000000004B70: 0B4A63A5
	v_mul_f32_e32 v166, v166, v50                              // 000000004B74: 0B4C65A6
	v_mul_f32_e32 v167, v167, v51                              // 000000004B78: 0B4E67A7
	s_waitcnt vmcnt(20)                                        // 000000004B7C: BF8C4F74
	buffer_load_dwordx4 a[80:83], v40, s[12:15], 0 offen       // 000000004B80: E05C1000 80835028
	v_mul_f32_e64 v48, -v168, s6                               // 000000004B88: D1050030 20000DA8
	v_mul_f32_e64 v49, -v169, s6                               // 000000004B90: D1050031 20000DA9
	v_mul_f32_e64 v50, -v170, s6                               // 000000004B98: D1050032 20000DAA
	v_mul_f32_e64 v51, -v171, s6                               // 000000004BA0: D1050033 20000DAB
	v_exp_f32_e32 v48, v48                                     // 000000004BA8: 7E604130
	v_exp_f32_e32 v49, v49                                     // 000000004BAC: 7E624131
	v_exp_f32_e32 v50, v50                                     // 000000004BB0: 7E644132
	v_exp_f32_e32 v51, v51                                     // 000000004BB4: 7E664133
	buffer_load_dwordx4 a[84:87], v41, s[12:15], 0 offen       // 000000004BB8: E05C1000 80835429
	v_add_f32_e64 v48, v48, 1.0                                // 000000004BC0: D1010030 0001E530
	v_add_f32_e64 v49, v49, 1.0                                // 000000004BC8: D1010031 0001E531
	v_add_f32_e64 v50, v50, 1.0                                // 000000004BD0: D1010032 0001E532
	v_add_f32_e64 v51, v51, 1.0                                // 000000004BD8: D1010033 0001E533
	v_rcp_f32_e32 v48, v48                                     // 000000004BE0: 7E604530
	v_rcp_f32_e32 v49, v49                                     // 000000004BE4: 7E624531
	v_rcp_f32_e32 v50, v50                                     // 000000004BE8: 7E644532
	v_rcp_f32_e32 v51, v51                                     // 000000004BEC: 7E664533
	v_mul_f32_e32 v168, v168, v48                              // 000000004BF0: 0B5061A8
	v_mul_f32_e32 v169, v169, v49                              // 000000004BF4: 0B5263A9
	v_mul_f32_e32 v170, v170, v50                              // 000000004BF8: 0B5465AA
	v_mul_f32_e32 v171, v171, v51                              // 000000004BFC: 0B5667AB
	buffer_load_dwordx4 a[88:91], v42, s[12:15], 0 offen       // 000000004C00: E05C1000 8083582A
	v_mul_f32_e64 v48, -v172, s6                               // 000000004C08: D1050030 20000DAC
	v_mul_f32_e64 v49, -v173, s6                               // 000000004C10: D1050031 20000DAD
	v_mul_f32_e64 v50, -v174, s6                               // 000000004C18: D1050032 20000DAE
	v_mul_f32_e64 v51, -v175, s6                               // 000000004C20: D1050033 20000DAF
	v_exp_f32_e32 v48, v48                                     // 000000004C28: 7E604130
	v_exp_f32_e32 v49, v49                                     // 000000004C2C: 7E624131
	v_exp_f32_e32 v50, v50                                     // 000000004C30: 7E644132
	v_exp_f32_e32 v51, v51                                     // 000000004C34: 7E664133
	buffer_load_dwordx4 a[92:95], v43, s[12:15], 0 offen       // 000000004C38: E05C1000 80835C2B
	v_add_f32_e64 v48, v48, 1.0                                // 000000004C40: D1010030 0001E530
	v_add_f32_e64 v49, v49, 1.0                                // 000000004C48: D1010031 0001E531
	v_add_f32_e64 v50, v50, 1.0                                // 000000004C50: D1010032 0001E532
	v_add_f32_e64 v51, v51, 1.0                                // 000000004C58: D1010033 0001E533
	v_rcp_f32_e32 v48, v48                                     // 000000004C60: 7E604530
	v_rcp_f32_e32 v49, v49                                     // 000000004C64: 7E624531
	v_rcp_f32_e32 v50, v50                                     // 000000004C68: 7E644532
	v_rcp_f32_e32 v51, v51                                     // 000000004C6C: 7E664533
	v_mul_f32_e32 v172, v172, v48                              // 000000004C70: 0B5861AC
	v_mul_f32_e32 v173, v173, v49                              // 000000004C74: 0B5A63AD
	v_mul_f32_e32 v174, v174, v50                              // 000000004C78: 0B5C65AE
	v_mul_f32_e32 v175, v175, v51                              // 000000004C7C: 0B5E67AF
	v_mul_f32_dpp v128, v18, v128 row_newbcast:0 row_mask:0xf bank_mask:0xf// 000000004C80: 0B0100FA FF015012
	v_mul_f32_dpp v129, v18, v129 row_newbcast:1 row_mask:0xf bank_mask:0xf// 000000004C88: 0B0302FA FF015112
	v_mul_f32_dpp v130, v18, v130 row_newbcast:2 row_mask:0xf bank_mask:0xf// 000000004C90: 0B0504FA FF015212
	v_mul_f32_dpp v131, v18, v131 row_newbcast:3 row_mask:0xf bank_mask:0xf// 000000004C98: 0B0706FA FF015312
	v_mul_f32_dpp v132, v18, v132 row_newbcast:0 row_mask:0xf bank_mask:0xf// 000000004CA0: 0B0908FA FF015012
	v_mul_f32_dpp v133, v18, v133 row_newbcast:1 row_mask:0xf bank_mask:0xf// 000000004CA8: 0B0B0AFA FF015112
	v_mul_f32_dpp v134, v18, v134 row_newbcast:2 row_mask:0xf bank_mask:0xf// 000000004CB0: 0B0D0CFA FF015212
	v_mul_f32_dpp v135, v18, v135 row_newbcast:3 row_mask:0xf bank_mask:0xf// 000000004CB8: 0B0F0EFA FF015312
	v_mul_f32_dpp v136, v18, v136 row_newbcast:4 row_mask:0xf bank_mask:0xf// 000000004CC0: 0B1110FA FF015412
	v_mul_f32_dpp v137, v18, v137 row_newbcast:5 row_mask:0xf bank_mask:0xf// 000000004CC8: 0B1312FA FF015512
	v_mul_f32_dpp v138, v18, v138 row_newbcast:6 row_mask:0xf bank_mask:0xf// 000000004CD0: 0B1514FA FF015612
	v_mul_f32_dpp v139, v18, v139 row_newbcast:7 row_mask:0xf bank_mask:0xf// 000000004CD8: 0B1716FA FF015712
	v_mul_f32_dpp v140, v18, v140 row_newbcast:4 row_mask:0xf bank_mask:0xf// 000000004CE0: 0B1918FA FF015412
	v_mul_f32_dpp v141, v18, v141 row_newbcast:5 row_mask:0xf bank_mask:0xf// 000000004CE8: 0B1B1AFA FF015512
	v_mul_f32_dpp v142, v18, v142 row_newbcast:6 row_mask:0xf bank_mask:0xf// 000000004CF0: 0B1D1CFA FF015612
	v_mul_f32_dpp v143, v18, v143 row_newbcast:7 row_mask:0xf bank_mask:0xf// 000000004CF8: 0B1F1EFA FF015712
	v_mul_f32_dpp v144, v18, v144 row_newbcast:8 row_mask:0xf bank_mask:0xf// 000000004D00: 0B2120FA FF015812
	v_mul_f32_dpp v145, v18, v145 row_newbcast:9 row_mask:0xf bank_mask:0xf// 000000004D08: 0B2322FA FF015912
	v_mul_f32_dpp v146, v18, v146 row_newbcast:10 row_mask:0xf bank_mask:0xf// 000000004D10: 0B2524FA FF015A12
	v_mul_f32_dpp v147, v18, v147 row_newbcast:11 row_mask:0xf bank_mask:0xf// 000000004D18: 0B2726FA FF015B12
	v_mul_f32_dpp v148, v18, v148 row_newbcast:8 row_mask:0xf bank_mask:0xf// 000000004D20: 0B2928FA FF015812
	v_mul_f32_dpp v149, v18, v149 row_newbcast:9 row_mask:0xf bank_mask:0xf// 000000004D28: 0B2B2AFA FF015912
	v_mul_f32_dpp v150, v18, v150 row_newbcast:10 row_mask:0xf bank_mask:0xf// 000000004D30: 0B2D2CFA FF015A12
	v_mul_f32_dpp v151, v18, v151 row_newbcast:11 row_mask:0xf bank_mask:0xf// 000000004D38: 0B2F2EFA FF015B12
	v_mul_f32_dpp v152, v18, v152 row_newbcast:12 row_mask:0xf bank_mask:0xf// 000000004D40: 0B3130FA FF015C12
	v_mul_f32_dpp v153, v18, v153 row_newbcast:13 row_mask:0xf bank_mask:0xf// 000000004D48: 0B3332FA FF015D12
	v_mul_f32_dpp v154, v18, v154 row_newbcast:14 row_mask:0xf bank_mask:0xf// 000000004D50: 0B3534FA FF015E12
	v_mul_f32_dpp v155, v18, v155 row_newbcast:15 row_mask:0xf bank_mask:0xf// 000000004D58: 0B3736FA FF015F12
	v_mul_f32_dpp v156, v18, v156 row_newbcast:12 row_mask:0xf bank_mask:0xf// 000000004D60: 0B3938FA FF015C12
	v_mul_f32_dpp v157, v18, v157 row_newbcast:13 row_mask:0xf bank_mask:0xf// 000000004D68: 0B3B3AFA FF015D12
	v_mul_f32_dpp v158, v18, v158 row_newbcast:14 row_mask:0xf bank_mask:0xf// 000000004D70: 0B3D3CFA FF015E12
	v_mul_f32_dpp v159, v18, v159 row_newbcast:15 row_mask:0xf bank_mask:0xf// 000000004D78: 0B3F3EFA FF015F12
	v_mul_f32_dpp v160, v19, v160 row_newbcast:0 row_mask:0xf bank_mask:0xf// 000000004D80: 0B4140FA FF015013
	v_mul_f32_dpp v161, v19, v161 row_newbcast:1 row_mask:0xf bank_mask:0xf// 000000004D88: 0B4342FA FF015113
	v_mul_f32_dpp v162, v19, v162 row_newbcast:2 row_mask:0xf bank_mask:0xf// 000000004D90: 0B4544FA FF015213
	v_mul_f32_dpp v163, v19, v163 row_newbcast:3 row_mask:0xf bank_mask:0xf// 000000004D98: 0B4746FA FF015313
	v_mul_f32_dpp v164, v19, v164 row_newbcast:0 row_mask:0xf bank_mask:0xf// 000000004DA0: 0B4948FA FF015013
	v_mul_f32_dpp v165, v19, v165 row_newbcast:1 row_mask:0xf bank_mask:0xf// 000000004DA8: 0B4B4AFA FF015113
	v_mul_f32_dpp v166, v19, v166 row_newbcast:2 row_mask:0xf bank_mask:0xf// 000000004DB0: 0B4D4CFA FF015213
	v_mul_f32_dpp v167, v19, v167 row_newbcast:3 row_mask:0xf bank_mask:0xf// 000000004DB8: 0B4F4EFA FF015313
	v_mul_f32_dpp v168, v19, v168 row_newbcast:4 row_mask:0xf bank_mask:0xf// 000000004DC0: 0B5150FA FF015413
	v_mul_f32_dpp v169, v19, v169 row_newbcast:5 row_mask:0xf bank_mask:0xf// 000000004DC8: 0B5352FA FF015513
	v_mul_f32_dpp v170, v19, v170 row_newbcast:6 row_mask:0xf bank_mask:0xf// 000000004DD0: 0B5554FA FF015613
	v_mul_f32_dpp v171, v19, v171 row_newbcast:7 row_mask:0xf bank_mask:0xf// 000000004DD8: 0B5756FA FF015713
	v_mul_f32_dpp v172, v19, v172 row_newbcast:4 row_mask:0xf bank_mask:0xf// 000000004DE0: 0B5958FA FF015413
	v_mul_f32_dpp v173, v19, v173 row_newbcast:5 row_mask:0xf bank_mask:0xf// 000000004DE8: 0B5B5AFA FF015513
	v_mul_f32_dpp v174, v19, v174 row_newbcast:6 row_mask:0xf bank_mask:0xf// 000000004DF0: 0B5D5CFA FF015613
	v_mul_f32_dpp v175, v19, v175 row_newbcast:7 row_mask:0xf bank_mask:0xf// 000000004DF8: 0B5F5EFA FF015713
	buffer_load_dword v12, v5, s[16:19], 0 offen               // 000000004E00: E0501000 80040C05
	v_mov_b32_e32 v22, 0x358637bd                              // 000000004E08: 7E2C02FF 358637BD
	v_mov_b32_e32 v23, 0x358637bd                              // 000000004E10: 7E2E02FF 358637BD
	v_max3_f32 v22, |v128|, |v129|, v22                        // 000000004E18: D1D30316 045B0380
	v_max3_f32 v22, |v130|, |v131|, v22                        // 000000004E20: D1D30316 045B0782
	v_max3_f32 v23, |v132|, |v133|, v23                        // 000000004E28: D1D30317 045F0B84
	v_max3_f32 v23, |v134|, |v135|, v23                        // 000000004E30: D1D30317 045F0F86
	v_max3_f32 v22, |v136|, |v137|, v22                        // 000000004E38: D1D30316 045B1388
	v_max3_f32 v22, |v138|, |v139|, v22                        // 000000004E40: D1D30316 045B178A
	v_max3_f32 v23, |v140|, |v141|, v23                        // 000000004E48: D1D30317 045F1B8C
	v_max3_f32 v23, |v142|, |v143|, v23                        // 000000004E50: D1D30317 045F1F8E
	v_max3_f32 v22, |v144|, |v145|, v22                        // 000000004E58: D1D30316 045B2390
	v_max3_f32 v22, |v146|, |v147|, v22                        // 000000004E60: D1D30316 045B2792
	v_max3_f32 v23, |v148|, |v149|, v23                        // 000000004E68: D1D30317 045F2B94
	v_max3_f32 v23, |v150|, |v151|, v23                        // 000000004E70: D1D30317 045F2F96
	v_max3_f32 v22, |v152|, |v153|, v22                        // 000000004E78: D1D30316 045B3398
	v_max3_f32 v22, |v154|, |v155|, v22                        // 000000004E80: D1D30316 045B379A
	v_max3_f32 v23, |v156|, |v157|, v23                        // 000000004E88: D1D30317 045F3B9C
	v_max3_f32 v23, |v158|, |v159|, v23                        // 000000004E90: D1D30317 045F3F9E
	v_max3_f32 v22, |v160|, |v161|, v22                        // 000000004E98: D1D30316 045B43A0
	v_max3_f32 v22, |v162|, |v163|, v22                        // 000000004EA0: D1D30316 045B47A2
	v_max3_f32 v23, |v164|, |v165|, v23                        // 000000004EA8: D1D30317 045F4BA4
	v_max3_f32 v23, |v166|, |v167|, v23                        // 000000004EB0: D1D30317 045F4FA6
	v_max3_f32 v22, |v168|, |v169|, v22                        // 000000004EB8: D1D30316 045B53A8
	v_max3_f32 v22, |v170|, |v171|, v22                        // 000000004EC0: D1D30316 045B57AA
	v_max3_f32 v23, |v172|, |v173|, v23                        // 000000004EC8: D1D30317 045F5BAC
	v_max3_f32 v23, |v174|, |v175|, v23                        // 000000004ED0: D1D30317 045F5FAE
	v_lshlrev_b32_e32 v48, 3, v0                               // 000000004ED8: 24600083
	s_mul_i32 s60, 0x200, s7                                   // 000000004EDC: 923C07FF 00000200
	v_add_u32_e32 v48, s60, v48                                // 000000004EE4: 6860603C
	ds_write_b64 v48, v[22:23] offset:16640                    // 000000004EE8: D89A4100 00001630
	s_waitcnt lgkmcnt(0)                                       // 000000004EF0: BF8CC07F
	s_barrier                                                  // 000000004EF4: BF8A0000
	v_and_b32_e32 v48, 15, v0                                  // 000000004EF8: 2660008F
	v_lshlrev_b32_e32 v48, 3, v48                              // 000000004EFC: 24606083
	ds_read_b64 v[96:97], v48 offset:16640                     // 000000004F00: D8EC4100 60000030
	ds_read_b64 v[98:99], v48 offset:16768                     // 000000004F08: D8EC4180 62000030
	ds_read_b64 v[100:101], v48 offset:16896                   // 000000004F10: D8EC4200 64000030
	ds_read_b64 v[102:103], v48 offset:17024                   // 000000004F18: D8EC4280 66000030
	ds_read_b64 v[104:105], v48 offset:17152                   // 000000004F20: D8EC4300 68000030
	ds_read_b64 v[106:107], v48 offset:17280                   // 000000004F28: D8EC4380 6A000030
	ds_read_b64 v[108:109], v48 offset:17408                   // 000000004F30: D8EC4400 6C000030
	ds_read_b64 v[110:111], v48 offset:17536                   // 000000004F38: D8EC4480 6E000030
	ds_read_b64 v[112:113], v48 offset:17664                   // 000000004F40: D8EC4500 70000030
	ds_read_b64 v[114:115], v48 offset:17792                   // 000000004F48: D8EC4580 72000030
	ds_read_b64 v[116:117], v48 offset:17920                   // 000000004F50: D8EC4600 74000030
	ds_read_b64 v[118:119], v48 offset:18048                   // 000000004F58: D8EC4680 76000030
	ds_read_b64 v[120:121], v48 offset:18176                   // 000000004F60: D8EC4700 78000030
	ds_read_b64 v[122:123], v48 offset:18304                   // 000000004F68: D8EC4780 7A000030
	ds_read_b64 v[124:125], v48 offset:18432                   // 000000004F70: D8EC4800 7C000030
	ds_read_b64 v[126:127], v48 offset:18560                   // 000000004F78: D8EC4880 7E000030
	s_waitcnt lgkmcnt(0)                                       // 000000004F80: BF8CC07F
	v_max3_f32 v22, |v96|, |v98|, v22                          // 000000004F84: D1D30316 045AC560
	v_max3_f32 v23, |v97|, |v99|, v23                          // 000000004F8C: D1D30317 045EC761
	v_max3_f32 v22, |v100|, |v102|, v22                        // 000000004F94: D1D30316 045ACD64
	v_max3_f32 v23, |v101|, |v103|, v23                        // 000000004F9C: D1D30317 045ECF65
	v_max3_f32 v22, |v104|, |v106|, v22                        // 000000004FA4: D1D30316 045AD568
	v_max3_f32 v23, |v105|, |v107|, v23                        // 000000004FAC: D1D30317 045ED769
	v_max3_f32 v22, |v108|, |v110|, v22                        // 000000004FB4: D1D30316 045ADD6C
	v_max3_f32 v23, |v109|, |v111|, v23                        // 000000004FBC: D1D30317 045EDF6D
	v_max3_f32 v22, |v112|, |v114|, v22                        // 000000004FC4: D1D30316 045AE570
	v_max3_f32 v23, |v113|, |v115|, v23                        // 000000004FCC: D1D30317 045EE771
	v_max3_f32 v22, |v116|, |v118|, v22                        // 000000004FD4: D1D30316 045AED74
	v_max3_f32 v23, |v117|, |v119|, v23                        // 000000004FDC: D1D30317 045EEF75
	v_max3_f32 v22, |v120|, |v122|, v22                        // 000000004FE4: D1D30316 045AF578
	v_max3_f32 v23, |v121|, |v123|, v23                        // 000000004FEC: D1D30317 045EF779
	v_max3_f32 v22, |v124|, |v126|, v22                        // 000000004FF4: D1D30316 045AFD7C
	v_max3_f32 v23, |v125|, |v127|, v23                        // 000000004FFC: D1D30317 045EFF7D
	v_rcp_f32_e32 v22, v22                                     // 000000005004: 7E2C4516
	v_rcp_f32_e32 v23, v23                                     // 000000005008: 7E2E4517
	v_mul_f32_e32 v22, 0x42fe0000, v22                         // 00000000500C: 0A2C2CFF 42FE0000
	v_mul_f32_e32 v23, 0x42fe0000, v23                         // 000000005014: 0A2E2EFF 42FE0000
	v_mul_f32_e32 v128, v22, v128                              // 00000000501C: 0B010116
	v_mul_f32_e32 v129, v22, v129                              // 000000005020: 0B030316
	v_mul_f32_e32 v130, v22, v130                              // 000000005024: 0B050516
	v_mul_f32_e32 v131, v22, v131                              // 000000005028: 0B070716
	v_cvt_i32_f32_e32 v128, v128                               // 00000000502C: 7F001180
	v_cvt_i32_f32_e32 v129, v129                               // 000000005030: 7F021181
	v_cvt_i32_f32_e32 v130, v130                               // 000000005034: 7F041182
	v_cvt_i32_f32_e32 v131, v131                               // 000000005038: 7F061183
	v_perm_b32 v128, v129, v128, s53                           // 00000000503C: D1ED0080 00D70181
	v_perm_b32 v128, v130, v128, s54                           // 000000005044: D1ED0080 00DB0182
	v_perm_b32 v128, v131, v128, s55                           // 00000000504C: D1ED0080 00DF0183
	v_mul_f32_e32 v132, v23, v132                              // 000000005054: 0B090917
	v_mul_f32_e32 v133, v23, v133                              // 000000005058: 0B0B0B17
	v_mul_f32_e32 v134, v23, v134                              // 00000000505C: 0B0D0D17
	v_mul_f32_e32 v135, v23, v135                              // 000000005060: 0B0F0F17
	v_cvt_i32_f32_e32 v132, v132                               // 000000005064: 7F081184
	v_cvt_i32_f32_e32 v133, v133                               // 000000005068: 7F0A1185
	v_cvt_i32_f32_e32 v134, v134                               // 00000000506C: 7F0C1186
	v_cvt_i32_f32_e32 v135, v135                               // 000000005070: 7F0E1187
	v_perm_b32 v129, v133, v132, s53                           // 000000005074: D1ED0081 00D70985
	v_perm_b32 v129, v134, v129, s54                           // 00000000507C: D1ED0081 00DB0386
	v_perm_b32 v129, v135, v129, s55                           // 000000005084: D1ED0081 00DF0387
	v_mul_f32_e32 v136, v22, v136                              // 00000000508C: 0B111116
	v_mul_f32_e32 v137, v22, v137                              // 000000005090: 0B131316
	v_mul_f32_e32 v138, v22, v138                              // 000000005094: 0B151516
	v_mul_f32_e32 v139, v22, v139                              // 000000005098: 0B171716
	v_cvt_i32_f32_e32 v136, v136                               // 00000000509C: 7F101188
	v_cvt_i32_f32_e32 v137, v137                               // 0000000050A0: 7F121189
	v_cvt_i32_f32_e32 v138, v138                               // 0000000050A4: 7F14118A
	v_cvt_i32_f32_e32 v139, v139                               // 0000000050A8: 7F16118B
	v_perm_b32 v130, v137, v136, s53                           // 0000000050AC: D1ED0082 00D71189
	v_perm_b32 v130, v138, v130, s54                           // 0000000050B4: D1ED0082 00DB058A
	v_perm_b32 v130, v139, v130, s55                           // 0000000050BC: D1ED0082 00DF058B
	v_mul_f32_e32 v140, v23, v140                              // 0000000050C4: 0B191917
	v_mul_f32_e32 v141, v23, v141                              // 0000000050C8: 0B1B1B17
	v_mul_f32_e32 v142, v23, v142                              // 0000000050CC: 0B1D1D17
	v_mul_f32_e32 v143, v23, v143                              // 0000000050D0: 0B1F1F17
	v_cvt_i32_f32_e32 v140, v140                               // 0000000050D4: 7F18118C
	v_cvt_i32_f32_e32 v141, v141                               // 0000000050D8: 7F1A118D
	v_cvt_i32_f32_e32 v142, v142                               // 0000000050DC: 7F1C118E
	v_cvt_i32_f32_e32 v143, v143                               // 0000000050E0: 7F1E118F
	v_perm_b32 v131, v141, v140, s53                           // 0000000050E4: D1ED0083 00D7198D
	v_perm_b32 v131, v142, v131, s54                           // 0000000050EC: D1ED0083 00DB078E
	v_perm_b32 v131, v143, v131, s55                           // 0000000050F4: D1ED0083 00DF078F
	v_mul_f32_e32 v144, v22, v144                              // 0000000050FC: 0B212116
	v_mul_f32_e32 v145, v22, v145                              // 000000005100: 0B232316
	v_mul_f32_e32 v146, v22, v146                              // 000000005104: 0B252516
	v_mul_f32_e32 v147, v22, v147                              // 000000005108: 0B272716
	v_cvt_i32_f32_e32 v144, v144                               // 00000000510C: 7F201190
	v_cvt_i32_f32_e32 v145, v145                               // 000000005110: 7F221191
	v_cvt_i32_f32_e32 v146, v146                               // 000000005114: 7F241192
	v_cvt_i32_f32_e32 v147, v147                               // 000000005118: 7F261193
	v_perm_b32 v132, v145, v144, s53                           // 00000000511C: D1ED0084 00D72191
	v_perm_b32 v132, v146, v132, s54                           // 000000005124: D1ED0084 00DB0992
	v_perm_b32 v132, v147, v132, s55                           // 00000000512C: D1ED0084 00DF0993
	v_mul_f32_e32 v148, v23, v148                              // 000000005134: 0B292917
	v_mul_f32_e32 v149, v23, v149                              // 000000005138: 0B2B2B17
	v_mul_f32_e32 v150, v23, v150                              // 00000000513C: 0B2D2D17
	v_mul_f32_e32 v151, v23, v151                              // 000000005140: 0B2F2F17
	v_cvt_i32_f32_e32 v148, v148                               // 000000005144: 7F281194
	v_cvt_i32_f32_e32 v149, v149                               // 000000005148: 7F2A1195
	v_cvt_i32_f32_e32 v150, v150                               // 00000000514C: 7F2C1196
	v_cvt_i32_f32_e32 v151, v151                               // 000000005150: 7F2E1197
	v_perm_b32 v133, v149, v148, s53                           // 000000005154: D1ED0085 00D72995
	v_perm_b32 v133, v150, v133, s54                           // 00000000515C: D1ED0085 00DB0B96
	v_perm_b32 v133, v151, v133, s55                           // 000000005164: D1ED0085 00DF0B97
	v_mul_f32_e32 v152, v22, v152                              // 00000000516C: 0B313116
	v_mul_f32_e32 v153, v22, v153                              // 000000005170: 0B333316
	v_mul_f32_e32 v154, v22, v154                              // 000000005174: 0B353516
	v_mul_f32_e32 v155, v22, v155                              // 000000005178: 0B373716
	v_cvt_i32_f32_e32 v152, v152                               // 00000000517C: 7F301198
	v_cvt_i32_f32_e32 v153, v153                               // 000000005180: 7F321199
	v_cvt_i32_f32_e32 v154, v154                               // 000000005184: 7F34119A
	v_cvt_i32_f32_e32 v155, v155                               // 000000005188: 7F36119B
	v_perm_b32 v134, v153, v152, s53                           // 00000000518C: D1ED0086 00D73199
	v_perm_b32 v134, v154, v134, s54                           // 000000005194: D1ED0086 00DB0D9A
	v_perm_b32 v134, v155, v134, s55                           // 00000000519C: D1ED0086 00DF0D9B
	v_mul_f32_e32 v156, v23, v156                              // 0000000051A4: 0B393917
	v_mul_f32_e32 v157, v23, v157                              // 0000000051A8: 0B3B3B17
	v_mul_f32_e32 v158, v23, v158                              // 0000000051AC: 0B3D3D17
	v_mul_f32_e32 v159, v23, v159                              // 0000000051B0: 0B3F3F17
	v_cvt_i32_f32_e32 v156, v156                               // 0000000051B4: 7F38119C
	v_cvt_i32_f32_e32 v157, v157                               // 0000000051B8: 7F3A119D
	v_cvt_i32_f32_e32 v158, v158                               // 0000000051BC: 7F3C119E
	v_cvt_i32_f32_e32 v159, v159                               // 0000000051C0: 7F3E119F
	v_perm_b32 v135, v157, v156, s53                           // 0000000051C4: D1ED0087 00D7399D
	v_perm_b32 v135, v158, v135, s54                           // 0000000051CC: D1ED0087 00DB0F9E
	v_perm_b32 v135, v159, v135, s55                           // 0000000051D4: D1ED0087 00DF0F9F
	v_mul_f32_e32 v160, v22, v160                              // 0000000051DC: 0B414116
	v_mul_f32_e32 v161, v22, v161                              // 0000000051E0: 0B434316
	v_mul_f32_e32 v162, v22, v162                              // 0000000051E4: 0B454516
	v_mul_f32_e32 v163, v22, v163                              // 0000000051E8: 0B474716
	v_cvt_i32_f32_e32 v160, v160                               // 0000000051EC: 7F4011A0
	v_cvt_i32_f32_e32 v161, v161                               // 0000000051F0: 7F4211A1
	v_cvt_i32_f32_e32 v162, v162                               // 0000000051F4: 7F4411A2
	v_cvt_i32_f32_e32 v163, v163                               // 0000000051F8: 7F4611A3
	v_perm_b32 v136, v161, v160, s53                           // 0000000051FC: D1ED0088 00D741A1
	v_perm_b32 v136, v162, v136, s54                           // 000000005204: D1ED0088 00DB11A2
	v_perm_b32 v136, v163, v136, s55                           // 00000000520C: D1ED0088 00DF11A3
	v_mul_f32_e32 v164, v23, v164                              // 000000005214: 0B494917
	v_mul_f32_e32 v165, v23, v165                              // 000000005218: 0B4B4B17
	v_mul_f32_e32 v166, v23, v166                              // 00000000521C: 0B4D4D17
	v_mul_f32_e32 v167, v23, v167                              // 000000005220: 0B4F4F17
	v_cvt_i32_f32_e32 v164, v164                               // 000000005224: 7F4811A4
	v_cvt_i32_f32_e32 v165, v165                               // 000000005228: 7F4A11A5
	v_cvt_i32_f32_e32 v166, v166                               // 00000000522C: 7F4C11A6
	v_cvt_i32_f32_e32 v167, v167                               // 000000005230: 7F4E11A7
	v_perm_b32 v137, v165, v164, s53                           // 000000005234: D1ED0089 00D749A5
	v_perm_b32 v137, v166, v137, s54                           // 00000000523C: D1ED0089 00DB13A6
	v_perm_b32 v137, v167, v137, s55                           // 000000005244: D1ED0089 00DF13A7
	v_mul_f32_e32 v168, v22, v168                              // 00000000524C: 0B515116
	v_mul_f32_e32 v169, v22, v169                              // 000000005250: 0B535316
	v_mul_f32_e32 v170, v22, v170                              // 000000005254: 0B555516
	v_mul_f32_e32 v171, v22, v171                              // 000000005258: 0B575716
	v_cvt_i32_f32_e32 v168, v168                               // 00000000525C: 7F5011A8
	v_cvt_i32_f32_e32 v169, v169                               // 000000005260: 7F5211A9
	v_cvt_i32_f32_e32 v170, v170                               // 000000005264: 7F5411AA
	v_cvt_i32_f32_e32 v171, v171                               // 000000005268: 7F5611AB
	v_perm_b32 v138, v169, v168, s53                           // 00000000526C: D1ED008A 00D751A9
	v_perm_b32 v138, v170, v138, s54                           // 000000005274: D1ED008A 00DB15AA
	v_perm_b32 v138, v171, v138, s55                           // 00000000527C: D1ED008A 00DF15AB
	v_mul_f32_e32 v172, v23, v172                              // 000000005284: 0B595917
	v_mul_f32_e32 v173, v23, v173                              // 000000005288: 0B5B5B17
	v_mul_f32_e32 v174, v23, v174                              // 00000000528C: 0B5D5D17
	v_mul_f32_e32 v175, v23, v175                              // 000000005290: 0B5F5F17
	v_cvt_i32_f32_e32 v172, v172                               // 000000005294: 7F5811AC
	v_cvt_i32_f32_e32 v173, v173                               // 000000005298: 7F5A11AD
	v_cvt_i32_f32_e32 v174, v174                               // 00000000529C: 7F5C11AE
	v_cvt_i32_f32_e32 v175, v175                               // 0000000052A0: 7F5E11AF
	v_perm_b32 v139, v173, v172, s53                           // 0000000052A4: D1ED008B 00D759AD
	v_perm_b32 v139, v174, v139, s54                           // 0000000052AC: D1ED008B 00DB17AE
	v_perm_b32 v139, v175, v139, s55                           // 0000000052B4: D1ED008B 00DF17AF
	v_rcp_f32_e32 v24, v22                                     // 0000000052BC: 7E304516
	v_rcp_f32_e32 v25, v23                                     // 0000000052C0: 7E324517
	v_lshrrev_b32_e32 v48, 5, v0                               // 0000000052C4: 20600085
	v_lshlrev_b32_e32 v49, 5, v48                              // 0000000052C8: 24626085
	v_and_b32_e32 v48, 31, v0                                  // 0000000052CC: 2660009F
	v_lshrrev_b32_e32 v50, 4, v48                              // 0000000052D0: 20646084
	v_add_u32_e32 v49, v50, v49                                // 0000000052D4: 68626332
	v_and_b32_e32 v48, 15, v0                                  // 0000000052D8: 2660008F
	v_lshlrev_b32_e32 v48, 1, v48                              // 0000000052DC: 24606081
	v_add_u32_e32 v49, v48, v49                                // 0000000052E0: 68626330
	v_lshlrev_b32_e32 v48, 2, v49                              // 0000000052E4: 24606282
	s_mul_i32 s60, 0x100, s7                                   // 0000000052E8: 923C07FF 00000100
	v_add_u32_e64 v48, v48, s60                                // 0000000052F0: D1340030 00007930
	ds_write_b32 v48, v128 offset:18688                        // 0000000052F8: D81A4900 00008030
	ds_write_b32 v48, v129 offset:24832                        // 000000005300: D81A6100 00008130
	ds_write_b32 v48, v130 offset:19712                        // 000000005308: D81A4D00 00008230
	ds_write_b32 v48, v131 offset:25856                        // 000000005310: D81A6500 00008330
	ds_write_b32 v48, v132 offset:20736                        // 000000005318: D81A5100 00008430
	ds_write_b32 v48, v133 offset:26880                        // 000000005320: D81A6900 00008530
	ds_write_b32 v48, v134 offset:21760                        // 000000005328: D81A5500 00008630
	ds_write_b32 v48, v135 offset:27904                        // 000000005330: D81A6D00 00008730
	ds_write_b32 v48, v136 offset:22784                        // 000000005338: D81A5900 00008830
	ds_write_b32 v48, v137 offset:28928                        // 000000005340: D81A7100 00008930
	ds_write_b32 v48, v138 offset:23808                        // 000000005348: D81A5D00 00008A30
	ds_write_b32 v48, v139 offset:29952                        // 000000005350: D81A7500 00008B30
	s_waitcnt lgkmcnt(0)                                       // 000000005358: BF8CC07F
	s_barrier                                                  // 00000000535C: BF8A0000
	v_lshrrev_b32_e32 v48, 4, v0                               // 000000005360: 20600084
	v_lshlrev_b32_e32 v49, 6, v48                              // 000000005364: 24626086
	v_and_b32_e32 v48, 15, v0                                  // 000000005368: 2660008F
	v_lshlrev_b32_e32 v48, 1, v48                              // 00000000536C: 24606081
	v_add_u32_e32 v49, v48, v49                                // 000000005370: 68626330
	v_lshlrev_b32_e32 v48, 2, v49                              // 000000005374: 24606282
	ds_read_b64 v[128:129], v48 offset:18688                   // 000000005378: D8EC4900 80000030
	ds_read_b64 v[130:131], v48 offset:18816                   // 000000005380: D8EC4980 82000030
	ds_read_b64 v[132:133], v48 offset:19712                   // 000000005388: D8EC4D00 84000030
	ds_read_b64 v[134:135], v48 offset:19840                   // 000000005390: D8EC4D80 86000030
	ds_read_b64 v[136:137], v48 offset:20736                   // 000000005398: D8EC5100 88000030
	ds_read_b64 v[138:139], v48 offset:20864                   // 0000000053A0: D8EC5180 8A000030
	ds_read_b64 v[140:141], v48 offset:21760                   // 0000000053A8: D8EC5500 8C000030
	ds_read_b64 v[142:143], v48 offset:21888                   // 0000000053B0: D8EC5580 8E000030
	ds_read_b64 v[144:145], v48 offset:22784                   // 0000000053B8: D8EC5900 90000030
	ds_read_b64 v[146:147], v48 offset:22912                   // 0000000053C0: D8EC5980 92000030
	ds_read_b64 v[148:149], v48 offset:23808                   // 0000000053C8: D8EC5D00 94000030
	ds_read_b64 v[150:151], v48 offset:23936                   // 0000000053D0: D8EC5D80 96000030
	ds_read_b64 v[152:153], v48 offset:24832                   // 0000000053D8: D8EC6100 98000030
	ds_read_b64 v[154:155], v48 offset:24960                   // 0000000053E0: D8EC6180 9A000030
	ds_read_b64 v[156:157], v48 offset:25856                   // 0000000053E8: D8EC6500 9C000030
	ds_read_b64 v[158:159], v48 offset:25984                   // 0000000053F0: D8EC6580 9E000030
	ds_read_b64 v[160:161], v48 offset:26880                   // 0000000053F8: D8EC6900 A0000030
	ds_read_b64 v[162:163], v48 offset:27008                   // 000000005400: D8EC6980 A2000030
	ds_read_b64 v[164:165], v48 offset:27904                   // 000000005408: D8EC6D00 A4000030
	ds_read_b64 v[166:167], v48 offset:28032                   // 000000005410: D8EC6D80 A6000030
	ds_read_b64 v[168:169], v48 offset:28928                   // 000000005418: D8EC7100 A8000030
	ds_read_b64 v[170:171], v48 offset:29056                   // 000000005420: D8EC7180 AA000030
	ds_read_b64 v[172:173], v48 offset:29952                   // 000000005428: D8EC7500 AC000030
	ds_read_b64 v[174:175], v48 offset:30080                   // 000000005430: D8EC7580 AE000030
	s_add_u32 s12, s56, s12                                    // 000000005438: 800C0C38
	s_addc_u32 s13, 0, s13                                     // 00000000543C: 820D0D80
	s_add_u32 s16, s79, s16                                    // 000000005440: 8010104F
	s_addc_u32 s17, 0, s17                                     // 000000005444: 82111180
	s_mov_b32 s80, 0                                           // 000000005448: BED00080
	s_waitcnt vmcnt(0) expcnt(0) lgkmcnt(0)                    // 00000000544C: BF8C0000

0000000000005450 <label_0994>:
	s_waitcnt vmcnt(37)                                        // 000000005450: BF8C8F75
	s_barrier                                                  // 000000005454: BF8A0000
	v_mfma_i32_16x16x32_i8 v[176:179], a[0:1], v[128:129], 0   // 000000005458: D3D700B0 0A030100
	v_mfma_i32_16x16x32_i8 v[176:179], a[2:3], v[130:131], v[176:179]// 000000005460: D3D700B0 0EC30502
	buffer_load_dwordx4 a[96:99], v40, s[12:15], 0 offen       // 000000005468: E05C1000 80836028
	v_mfma_i32_16x16x32_i8 v[180:183], a[0:1], v[152:153], 0   // 000000005470: D3D700B4 0A033100
	v_mfma_i32_16x16x32_i8 v[180:183], a[2:3], v[154:155], v[180:183]// 000000005478: D3D700B4 0ED33502
	v_mfma_i32_16x16x32_i8 v[184:187], a[4:5], v[128:129], 0   // 000000005480: D3D700B8 0A030104
	v_mfma_i32_16x16x32_i8 v[184:187], a[6:7], v[130:131], v[184:187]// 000000005488: D3D700B8 0EE30506
	buffer_load_dwordx4 a[100:103], v41, s[12:15], 0 offen     // 000000005490: E05C1000 80836429
	v_mfma_i32_16x16x32_i8 v[188:191], a[4:5], v[152:153], 0   // 000000005498: D3D700BC 0A033104
	v_mfma_i32_16x16x32_i8 v[188:191], a[6:7], v[154:155], v[188:191]// 0000000054A0: D3D700BC 0EF33506
	v_mfma_i32_16x16x32_i8 v[192:195], a[8:9], v[128:129], 0   // 0000000054A8: D3D700C0 0A030108
	v_mfma_i32_16x16x32_i8 v[192:195], a[10:11], v[130:131], v[192:195]// 0000000054B0: D3D700C0 0F03050A
	buffer_load_dwordx4 a[104:107], v42, s[12:15], 0 offen     // 0000000054B8: E05C1000 8083682A
	v_mfma_i32_16x16x32_i8 v[196:199], a[8:9], v[152:153], 0   // 0000000054C0: D3D700C4 0A033108
	v_mfma_i32_16x16x32_i8 v[196:199], a[10:11], v[154:155], v[196:199]// 0000000054C8: D3D700C4 0F13350A
	v_mfma_i32_16x16x32_i8 v[200:203], a[12:13], v[128:129], 0 // 0000000054D0: D3D700C8 0A03010C
	v_mfma_i32_16x16x32_i8 v[200:203], a[14:15], v[130:131], v[200:203]// 0000000054D8: D3D700C8 0F23050E
	buffer_load_dwordx4 a[108:111], v43, s[12:15], 0 offen     // 0000000054E0: E05C1000 80836C2B
	s_add_u32 s12, s78, s12                                    // 0000000054E8: 800C0C4E
	s_addc_u32 s13, 0, s13                                     // 0000000054EC: 820D0D80
	v_mfma_i32_16x16x32_i8 v[204:207], a[12:13], v[152:153], 0 // 0000000054F0: D3D700CC 0A03310C
	v_mfma_i32_16x16x32_i8 v[204:207], a[14:15], v[154:155], v[204:207]// 0000000054F8: D3D700CC 0F33350E
	s_waitcnt vmcnt(37)                                        // 000000005500: BF8C8F75
	v_mfma_i32_16x16x32_i8 v[176:179], a[16:17], v[132:133], v[176:179]// 000000005504: D3D700B0 0EC30910
	v_mfma_i32_16x16x32_i8 v[176:179], a[18:19], v[134:135], v[176:179]// 00000000550C: D3D700B0 0EC30D12
	buffer_load_dwordx4 a[112:115], v40, s[12:15], 0 offen     // 000000005514: E05C1000 80837028
	v_mfma_i32_16x16x32_i8 v[180:183], a[16:17], v[156:157], v[180:183]// 00000000551C: D3D700B4 0ED33910
	v_mfma_i32_16x16x32_i8 v[180:183], a[18:19], v[158:159], v[180:183]// 000000005524: D3D700B4 0ED33D12
	v_mfma_i32_16x16x32_i8 v[184:187], a[20:21], v[132:133], v[184:187]// 00000000552C: D3D700B8 0EE30914
	v_mfma_i32_16x16x32_i8 v[184:187], a[22:23], v[134:135], v[184:187]// 000000005534: D3D700B8 0EE30D16
	buffer_load_dwordx4 a[116:119], v41, s[12:15], 0 offen     // 00000000553C: E05C1000 80837429
	v_mfma_i32_16x16x32_i8 v[188:191], a[20:21], v[156:157], v[188:191]// 000000005544: D3D700BC 0EF33914
	v_mfma_i32_16x16x32_i8 v[188:191], a[22:23], v[158:159], v[188:191]// 00000000554C: D3D700BC 0EF33D16
	v_mfma_i32_16x16x32_i8 v[192:195], a[24:25], v[132:133], v[192:195]// 000000005554: D3D700C0 0F030918
	v_mfma_i32_16x16x32_i8 v[192:195], a[26:27], v[134:135], v[192:195]// 00000000555C: D3D700C0 0F030D1A
	buffer_load_dwordx4 a[120:123], v42, s[12:15], 0 offen     // 000000005564: E05C1000 8083782A
	v_mfma_i32_16x16x32_i8 v[196:199], a[24:25], v[156:157], v[196:199]// 00000000556C: D3D700C4 0F133918
	v_mfma_i32_16x16x32_i8 v[196:199], a[26:27], v[158:159], v[196:199]// 000000005574: D3D700C4 0F133D1A
	v_mfma_i32_16x16x32_i8 v[200:203], a[28:29], v[132:133], v[200:203]// 00000000557C: D3D700C8 0F23091C
	v_mfma_i32_16x16x32_i8 v[200:203], a[30:31], v[134:135], v[200:203]// 000000005584: D3D700C8 0F230D1E
	buffer_load_dwordx4 a[124:127], v43, s[12:15], 0 offen     // 00000000558C: E05C1000 80837C2B
	s_add_u32 s12, s78, s12                                    // 000000005594: 800C0C4E
	s_addc_u32 s13, 0, s13                                     // 000000005598: 820D0D80
	v_mfma_i32_16x16x32_i8 v[204:207], a[28:29], v[156:157], v[204:207]// 00000000559C: D3D700CC 0F33391C
	v_mfma_i32_16x16x32_i8 v[204:207], a[30:31], v[158:159], v[204:207]// 0000000055A4: D3D700CC 0F333D1E
	s_waitcnt vmcnt(37)                                        // 0000000055AC: BF8C8F75
	v_mfma_i32_16x16x32_i8 v[176:179], a[32:33], v[136:137], v[176:179]// 0000000055B0: D3D700B0 0EC31120
	v_mfma_i32_16x16x32_i8 v[176:179], a[34:35], v[138:139], v[176:179]// 0000000055B8: D3D700B0 0EC31522
	buffer_load_dwordx4 a[128:131], v40, s[12:15], 0 offen     // 0000000055C0: E05C1000 80838028
	v_mfma_i32_16x16x32_i8 v[180:183], a[32:33], v[160:161], v[180:183]// 0000000055C8: D3D700B4 0ED34120
	v_mfma_i32_16x16x32_i8 v[180:183], a[34:35], v[162:163], v[180:183]// 0000000055D0: D3D700B4 0ED34522
	v_mfma_i32_16x16x32_i8 v[184:187], a[36:37], v[136:137], v[184:187]// 0000000055D8: D3D700B8 0EE31124
	v_mfma_i32_16x16x32_i8 v[184:187], a[38:39], v[138:139], v[184:187]// 0000000055E0: D3D700B8 0EE31526
	buffer_load_dwordx4 a[132:135], v41, s[12:15], 0 offen     // 0000000055E8: E05C1000 80838429
	v_mfma_i32_16x16x32_i8 v[188:191], a[36:37], v[160:161], v[188:191]// 0000000055F0: D3D700BC 0EF34124
	v_mfma_i32_16x16x32_i8 v[188:191], a[38:39], v[162:163], v[188:191]// 0000000055F8: D3D700BC 0EF34526
	v_mfma_i32_16x16x32_i8 v[192:195], a[40:41], v[136:137], v[192:195]// 000000005600: D3D700C0 0F031128
	v_mfma_i32_16x16x32_i8 v[192:195], a[42:43], v[138:139], v[192:195]// 000000005608: D3D700C0 0F03152A
	buffer_load_dwordx4 a[136:139], v42, s[12:15], 0 offen     // 000000005610: E05C1000 8083882A
	v_mfma_i32_16x16x32_i8 v[196:199], a[40:41], v[160:161], v[196:199]// 000000005618: D3D700C4 0F134128
	v_mfma_i32_16x16x32_i8 v[196:199], a[42:43], v[162:163], v[196:199]// 000000005620: D3D700C4 0F13452A
	v_mfma_i32_16x16x32_i8 v[200:203], a[44:45], v[136:137], v[200:203]// 000000005628: D3D700C8 0F23112C
	v_mfma_i32_16x16x32_i8 v[200:203], a[46:47], v[138:139], v[200:203]// 000000005630: D3D700C8 0F23152E
	buffer_load_dwordx4 a[140:143], v43, s[12:15], 0 offen     // 000000005638: E05C1000 80838C2B
	s_add_u32 s12, s78, s12                                    // 000000005640: 800C0C4E
	s_addc_u32 s13, 0, s13                                     // 000000005644: 820D0D80
	v_mfma_i32_16x16x32_i8 v[204:207], a[44:45], v[160:161], v[204:207]// 000000005648: D3D700CC 0F33412C
	v_mfma_i32_16x16x32_i8 v[204:207], a[46:47], v[162:163], v[204:207]// 000000005650: D3D700CC 0F33452E
	s_waitcnt vmcnt(37)                                        // 000000005658: BF8C8F75
	v_mfma_i32_16x16x32_i8 v[176:179], a[48:49], v[140:141], v[176:179]// 00000000565C: D3D700B0 0EC31930
	v_mfma_i32_16x16x32_i8 v[176:179], a[50:51], v[142:143], v[176:179]// 000000005664: D3D700B0 0EC31D32
	buffer_load_dwordx4 a[144:147], v40, s[12:15], 0 offen     // 00000000566C: E05C1000 80839028
	v_mfma_i32_16x16x32_i8 v[180:183], a[48:49], v[164:165], v[180:183]// 000000005674: D3D700B4 0ED34930
	v_mfma_i32_16x16x32_i8 v[180:183], a[50:51], v[166:167], v[180:183]// 00000000567C: D3D700B4 0ED34D32
	v_mfma_i32_16x16x32_i8 v[184:187], a[52:53], v[140:141], v[184:187]// 000000005684: D3D700B8 0EE31934
	v_mfma_i32_16x16x32_i8 v[184:187], a[54:55], v[142:143], v[184:187]// 00000000568C: D3D700B8 0EE31D36
	buffer_load_dwordx4 a[148:151], v41, s[12:15], 0 offen     // 000000005694: E05C1000 80839429
	v_mfma_i32_16x16x32_i8 v[188:191], a[52:53], v[164:165], v[188:191]// 00000000569C: D3D700BC 0EF34934
	v_mfma_i32_16x16x32_i8 v[188:191], a[54:55], v[166:167], v[188:191]// 0000000056A4: D3D700BC 0EF34D36
	v_mfma_i32_16x16x32_i8 v[192:195], a[56:57], v[140:141], v[192:195]// 0000000056AC: D3D700C0 0F031938
	v_mfma_i32_16x16x32_i8 v[192:195], a[58:59], v[142:143], v[192:195]// 0000000056B4: D3D700C0 0F031D3A
	buffer_load_dwordx4 a[152:155], v42, s[12:15], 0 offen     // 0000000056BC: E05C1000 8083982A
	v_mfma_i32_16x16x32_i8 v[196:199], a[56:57], v[164:165], v[196:199]// 0000000056C4: D3D700C4 0F134938
	v_mfma_i32_16x16x32_i8 v[196:199], a[58:59], v[166:167], v[196:199]// 0000000056CC: D3D700C4 0F134D3A
	v_mfma_i32_16x16x32_i8 v[200:203], a[60:61], v[140:141], v[200:203]// 0000000056D4: D3D700C8 0F23193C
	v_mfma_i32_16x16x32_i8 v[200:203], a[62:63], v[142:143], v[200:203]// 0000000056DC: D3D700C8 0F231D3E
	buffer_load_dwordx4 a[156:159], v43, s[12:15], 0 offen     // 0000000056E4: E05C1000 80839C2B
	s_add_u32 s12, s78, s12                                    // 0000000056EC: 800C0C4E
	s_addc_u32 s13, 0, s13                                     // 0000000056F0: 820D0D80
	v_mfma_i32_16x16x32_i8 v[204:207], a[60:61], v[164:165], v[204:207]// 0000000056F4: D3D700CC 0F33493C
	v_mfma_i32_16x16x32_i8 v[204:207], a[62:63], v[166:167], v[204:207]// 0000000056FC: D3D700CC 0F334D3E
	s_waitcnt vmcnt(37)                                        // 000000005704: BF8C8F75
	v_mfma_i32_16x16x32_i8 v[176:179], a[64:65], v[144:145], v[176:179]// 000000005708: D3D700B0 0EC32140
	v_mfma_i32_16x16x32_i8 v[176:179], a[66:67], v[146:147], v[176:179]// 000000005710: D3D700B0 0EC32542
	buffer_load_dwordx4 a[160:163], v40, s[12:15], 0 offen     // 000000005718: E05C1000 8083A028
	v_mfma_i32_16x16x32_i8 v[180:183], a[64:65], v[168:169], v[180:183]// 000000005720: D3D700B4 0ED35140
	v_mfma_i32_16x16x32_i8 v[180:183], a[66:67], v[170:171], v[180:183]// 000000005728: D3D700B4 0ED35542
	v_mfma_i32_16x16x32_i8 v[184:187], a[68:69], v[144:145], v[184:187]// 000000005730: D3D700B8 0EE32144
	v_mfma_i32_16x16x32_i8 v[184:187], a[70:71], v[146:147], v[184:187]// 000000005738: D3D700B8 0EE32546
	buffer_load_dwordx4 a[164:167], v41, s[12:15], 0 offen     // 000000005740: E05C1000 8083A429
	v_mfma_i32_16x16x32_i8 v[188:191], a[68:69], v[168:169], v[188:191]// 000000005748: D3D700BC 0EF35144
	v_mfma_i32_16x16x32_i8 v[188:191], a[70:71], v[170:171], v[188:191]// 000000005750: D3D700BC 0EF35546
	v_mfma_i32_16x16x32_i8 v[192:195], a[72:73], v[144:145], v[192:195]// 000000005758: D3D700C0 0F032148
	v_mfma_i32_16x16x32_i8 v[192:195], a[74:75], v[146:147], v[192:195]// 000000005760: D3D700C0 0F03254A
	buffer_load_dwordx4 a[168:171], v42, s[12:15], 0 offen     // 000000005768: E05C1000 8083A82A
	v_mfma_i32_16x16x32_i8 v[196:199], a[72:73], v[168:169], v[196:199]// 000000005770: D3D700C4 0F135148
	v_mfma_i32_16x16x32_i8 v[196:199], a[74:75], v[170:171], v[196:199]// 000000005778: D3D700C4 0F13554A
	v_mfma_i32_16x16x32_i8 v[200:203], a[76:77], v[144:145], v[200:203]// 000000005780: D3D700C8 0F23214C
	v_mfma_i32_16x16x32_i8 v[200:203], a[78:79], v[146:147], v[200:203]// 000000005788: D3D700C8 0F23254E
	buffer_load_dwordx4 a[172:175], v43, s[12:15], 0 offen     // 000000005790: E05C1000 8083AC2B
	s_add_u32 s12, s78, s12                                    // 000000005798: 800C0C4E
	s_addc_u32 s13, 0, s13                                     // 00000000579C: 820D0D80
	v_mfma_i32_16x16x32_i8 v[204:207], a[76:77], v[168:169], v[204:207]// 0000000057A0: D3D700CC 0F33514C
	v_mfma_i32_16x16x32_i8 v[204:207], a[78:79], v[170:171], v[204:207]// 0000000057A8: D3D700CC 0F33554E
	s_waitcnt vmcnt(36)                                        // 0000000057B0: BF8C8F74
	v_mfma_i32_16x16x32_i8 v[176:179], a[80:81], v[148:149], v[176:179]// 0000000057B4: D3D700B0 0EC32950
	v_mfma_i32_16x16x32_i8 v[176:179], a[82:83], v[150:151], v[176:179]// 0000000057BC: D3D700B0 0EC32D52
	buffer_load_dwordx4 a[176:179], v40, s[12:15], 0 offen     // 0000000057C4: E05C1000 8083B028
	v_mfma_i32_16x16x32_i8 v[180:183], a[80:81], v[172:173], v[180:183]// 0000000057CC: D3D700B4 0ED35950
	v_mfma_i32_16x16x32_i8 v[180:183], a[82:83], v[174:175], v[180:183]// 0000000057D4: D3D700B4 0ED35D52
	buffer_load_dword v13, v5, s[16:19], 0 offen               // 0000000057DC: E0501000 80040D05
	v_mfma_i32_16x16x32_i8 v[184:187], a[84:85], v[148:149], v[184:187]// 0000000057E4: D3D700B8 0EE32954
	v_mfma_i32_16x16x32_i8 v[184:187], a[86:87], v[150:151], v[184:187]// 0000000057EC: D3D700B8 0EE32D56
	buffer_load_dwordx4 a[180:183], v41, s[12:15], 0 offen     // 0000000057F4: E05C1000 8083B429
	v_mfma_i32_16x16x32_i8 v[188:191], a[84:85], v[172:173], v[188:191]// 0000000057FC: D3D700BC 0EF35954
	v_mfma_i32_16x16x32_i8 v[188:191], a[86:87], v[174:175], v[188:191]// 000000005804: D3D700BC 0EF35D56
	v_mfma_i32_16x16x32_i8 v[192:195], a[88:89], v[148:149], v[192:195]// 00000000580C: D3D700C0 0F032958
	v_mfma_i32_16x16x32_i8 v[192:195], a[90:91], v[150:151], v[192:195]// 000000005814: D3D700C0 0F032D5A
	buffer_load_dwordx4 a[184:187], v42, s[12:15], 0 offen     // 00000000581C: E05C1000 8083B82A
	v_mfma_i32_16x16x32_i8 v[196:199], a[88:89], v[172:173], v[196:199]// 000000005824: D3D700C4 0F135958
	v_mfma_i32_16x16x32_i8 v[196:199], a[90:91], v[174:175], v[196:199]// 00000000582C: D3D700C4 0F135D5A
	v_mfma_i32_16x16x32_i8 v[200:203], a[92:93], v[148:149], v[200:203]// 000000005834: D3D700C8 0F23295C
	v_mfma_i32_16x16x32_i8 v[200:203], a[94:95], v[150:151], v[200:203]// 00000000583C: D3D700C8 0F232D5E
	buffer_load_dwordx4 a[188:191], v43, s[12:15], 0 offen     // 000000005844: E05C1000 8083BC2B
	v_mfma_i32_16x16x32_i8 v[204:207], a[92:93], v[172:173], v[204:207]// 00000000584C: D3D700CC 0F33595C
	v_mfma_i32_16x16x32_i8 v[204:207], a[94:95], v[174:175], v[204:207]// 000000005854: D3D700CC 0F335D5E
	s_add_u32 s60, 0x200, s80                                  // 00000000585C: 803C50FF 00000200
	s_cmp_lt_u32 s60, s81                                      // 000000005864: BF0A513C
	s_cselect_b32 s56, s56, 0                                  // 000000005868: 85388038
	s_cselect_b32 s78, s78, 0                                  // 00000000586C: 854E804E
	s_cselect_b32 s79, s79, 0                                  // 000000005870: 854F804F
	s_add_u32 s12, s56, s12                                    // 000000005874: 800C0C38
	s_addc_u32 s13, 0, s13                                     // 000000005878: 820D0D80
	s_add_u32 s16, s79, s16                                    // 00000000587C: 8010104F
	s_addc_u32 s17, 0, s17                                     // 000000005880: 82111180
	v_cvt_f32_i32_e32 v176, v176                               // 000000005884: 7F600BB0
	v_cvt_f32_i32_e32 v177, v177                               // 000000005888: 7F620BB1
	v_cvt_f32_i32_e32 v178, v178                               // 00000000588C: 7F640BB2
	v_cvt_f32_i32_e32 v179, v179                               // 000000005890: 7F660BB3
	v_mul_f32_e32 v176, v24, v176                              // 000000005894: 0B616118
	v_mul_f32_e32 v177, v24, v177                              // 000000005898: 0B636318
	v_mul_f32_e32 v178, v24, v178                              // 00000000589C: 0B656518
	v_mul_f32_e32 v179, v24, v179                              // 0000000058A0: 0B676718
	v_mul_f32_dpp v176, v12, v176 row_newbcast:0 row_mask:0xf bank_mask:0xf// 0000000058A4: 0B6160FA FF01500C
	v_mul_f32_dpp v177, v12, v177 row_newbcast:1 row_mask:0xf bank_mask:0xf// 0000000058AC: 0B6362FA FF01510C
	v_mul_f32_dpp v178, v12, v178 row_newbcast:2 row_mask:0xf bank_mask:0xf// 0000000058B4: 0B6564FA FF01520C
	v_mul_f32_dpp v179, v12, v179 row_newbcast:3 row_mask:0xf bank_mask:0xf// 0000000058BC: 0B6766FA FF01530C
	v_mul_f32_e32 v176, v20, v176                              // 0000000058C4: 0B616114
	v_mul_f32_e32 v177, v20, v177                              // 0000000058C8: 0B636314
	v_mul_f32_e32 v178, v20, v178                              // 0000000058CC: 0B656514
	v_mul_f32_e32 v179, v20, v179                              // 0000000058D0: 0B676714
	v_cvt_f32_i32_e32 v180, v180                               // 0000000058D4: 7F680BB4
	v_cvt_f32_i32_e32 v181, v181                               // 0000000058D8: 7F6A0BB5
	v_cvt_f32_i32_e32 v182, v182                               // 0000000058DC: 7F6C0BB6
	v_cvt_f32_i32_e32 v183, v183                               // 0000000058E0: 7F6E0BB7
	v_mul_f32_e32 v180, v25, v180                              // 0000000058E4: 0B696919
	v_mul_f32_e32 v181, v25, v181                              // 0000000058E8: 0B6B6B19
	v_mul_f32_e32 v182, v25, v182                              // 0000000058EC: 0B6D6D19
	v_mul_f32_e32 v183, v25, v183                              // 0000000058F0: 0B6F6F19
	v_mul_f32_dpp v180, v12, v180 row_newbcast:0 row_mask:0xf bank_mask:0xf// 0000000058F4: 0B6968FA FF01500C
	v_mul_f32_dpp v181, v12, v181 row_newbcast:1 row_mask:0xf bank_mask:0xf// 0000000058FC: 0B6B6AFA FF01510C
	v_mul_f32_dpp v182, v12, v182 row_newbcast:2 row_mask:0xf bank_mask:0xf// 000000005904: 0B6D6CFA FF01520C
	v_mul_f32_dpp v183, v12, v183 row_newbcast:3 row_mask:0xf bank_mask:0xf// 00000000590C: 0B6F6EFA FF01530C
	v_mul_f32_e32 v180, v21, v180                              // 000000005914: 0B696915
	v_mul_f32_e32 v181, v21, v181                              // 000000005918: 0B6B6B15
	v_mul_f32_e32 v182, v21, v182                              // 00000000591C: 0B6D6D15
	v_mul_f32_e32 v183, v21, v183                              // 000000005920: 0B6F6F15
	v_cvt_f32_i32_e32 v184, v184                               // 000000005924: 7F700BB8
	v_cvt_f32_i32_e32 v185, v185                               // 000000005928: 7F720BB9
	v_cvt_f32_i32_e32 v186, v186                               // 00000000592C: 7F740BBA
	v_cvt_f32_i32_e32 v187, v187                               // 000000005930: 7F760BBB
	v_mul_f32_e32 v184, v24, v184                              // 000000005934: 0B717118
	v_mul_f32_e32 v185, v24, v185                              // 000000005938: 0B737318
	v_mul_f32_e32 v186, v24, v186                              // 00000000593C: 0B757518
	v_mul_f32_e32 v187, v24, v187                              // 000000005940: 0B777718
	v_mul_f32_dpp v184, v12, v184 row_newbcast:4 row_mask:0xf bank_mask:0xf// 000000005944: 0B7170FA FF01540C
	v_mul_f32_dpp v185, v12, v185 row_newbcast:5 row_mask:0xf bank_mask:0xf// 00000000594C: 0B7372FA FF01550C
	v_mul_f32_dpp v186, v12, v186 row_newbcast:6 row_mask:0xf bank_mask:0xf// 000000005954: 0B7574FA FF01560C
	v_mul_f32_dpp v187, v12, v187 row_newbcast:7 row_mask:0xf bank_mask:0xf// 00000000595C: 0B7776FA FF01570C
	v_mul_f32_e32 v184, v20, v184                              // 000000005964: 0B717114
	v_mul_f32_e32 v185, v20, v185                              // 000000005968: 0B737314
	v_mul_f32_e32 v186, v20, v186                              // 00000000596C: 0B757514
	v_mul_f32_e32 v187, v20, v187                              // 000000005970: 0B777714
	v_cvt_f32_i32_e32 v188, v188                               // 000000005974: 7F780BBC
	v_cvt_f32_i32_e32 v189, v189                               // 000000005978: 7F7A0BBD
	v_cvt_f32_i32_e32 v190, v190                               // 00000000597C: 7F7C0BBE
	v_cvt_f32_i32_e32 v191, v191                               // 000000005980: 7F7E0BBF
	v_mul_f32_e32 v188, v25, v188                              // 000000005984: 0B797919
	v_mul_f32_e32 v189, v25, v189                              // 000000005988: 0B7B7B19
	v_mul_f32_e32 v190, v25, v190                              // 00000000598C: 0B7D7D19
	v_mul_f32_e32 v191, v25, v191                              // 000000005990: 0B7F7F19
	v_mul_f32_dpp v188, v12, v188 row_newbcast:4 row_mask:0xf bank_mask:0xf// 000000005994: 0B7978FA FF01540C
	v_mul_f32_dpp v189, v12, v189 row_newbcast:5 row_mask:0xf bank_mask:0xf// 00000000599C: 0B7B7AFA FF01550C
	v_mul_f32_dpp v190, v12, v190 row_newbcast:6 row_mask:0xf bank_mask:0xf// 0000000059A4: 0B7D7CFA FF01560C
	v_mul_f32_dpp v191, v12, v191 row_newbcast:7 row_mask:0xf bank_mask:0xf// 0000000059AC: 0B7F7EFA FF01570C
	v_mul_f32_e32 v188, v21, v188                              // 0000000059B4: 0B797915
	v_mul_f32_e32 v189, v21, v189                              // 0000000059B8: 0B7B7B15
	v_mul_f32_e32 v190, v21, v190                              // 0000000059BC: 0B7D7D15
	v_mul_f32_e32 v191, v21, v191                              // 0000000059C0: 0B7F7F15
	v_cvt_f32_i32_e32 v192, v192                               // 0000000059C4: 7F800BC0
	v_cvt_f32_i32_e32 v193, v193                               // 0000000059C8: 7F820BC1
	v_cvt_f32_i32_e32 v194, v194                               // 0000000059CC: 7F840BC2
	v_cvt_f32_i32_e32 v195, v195                               // 0000000059D0: 7F860BC3
	v_mul_f32_e32 v192, v24, v192                              // 0000000059D4: 0B818118
	v_mul_f32_e32 v193, v24, v193                              // 0000000059D8: 0B838318
	v_mul_f32_e32 v194, v24, v194                              // 0000000059DC: 0B858518
	v_mul_f32_e32 v195, v24, v195                              // 0000000059E0: 0B878718
	v_mul_f32_dpp v192, v12, v192 row_newbcast:8 row_mask:0xf bank_mask:0xf// 0000000059E4: 0B8180FA FF01580C
	v_mul_f32_dpp v193, v12, v193 row_newbcast:9 row_mask:0xf bank_mask:0xf// 0000000059EC: 0B8382FA FF01590C
	v_mul_f32_dpp v194, v12, v194 row_newbcast:10 row_mask:0xf bank_mask:0xf// 0000000059F4: 0B8584FA FF015A0C
	v_mul_f32_dpp v195, v12, v195 row_newbcast:11 row_mask:0xf bank_mask:0xf// 0000000059FC: 0B8786FA FF015B0C
	v_mul_f32_e32 v192, v20, v192                              // 000000005A04: 0B818114
	v_mul_f32_e32 v193, v20, v193                              // 000000005A08: 0B838314
	v_mul_f32_e32 v194, v20, v194                              // 000000005A0C: 0B858514
	v_mul_f32_e32 v195, v20, v195                              // 000000005A10: 0B878714
	v_cvt_f32_i32_e32 v196, v196                               // 000000005A14: 7F880BC4
	v_cvt_f32_i32_e32 v197, v197                               // 000000005A18: 7F8A0BC5
	v_cvt_f32_i32_e32 v198, v198                               // 000000005A1C: 7F8C0BC6
	v_cvt_f32_i32_e32 v199, v199                               // 000000005A20: 7F8E0BC7
	v_mul_f32_e32 v196, v25, v196                              // 000000005A24: 0B898919
	v_mul_f32_e32 v197, v25, v197                              // 000000005A28: 0B8B8B19
	v_mul_f32_e32 v198, v25, v198                              // 000000005A2C: 0B8D8D19
	v_mul_f32_e32 v199, v25, v199                              // 000000005A30: 0B8F8F19
	v_mul_f32_dpp v196, v12, v196 row_newbcast:8 row_mask:0xf bank_mask:0xf// 000000005A34: 0B8988FA FF01580C
	v_mul_f32_dpp v197, v12, v197 row_newbcast:9 row_mask:0xf bank_mask:0xf// 000000005A3C: 0B8B8AFA FF01590C
	v_mul_f32_dpp v198, v12, v198 row_newbcast:10 row_mask:0xf bank_mask:0xf// 000000005A44: 0B8D8CFA FF015A0C
	v_mul_f32_dpp v199, v12, v199 row_newbcast:11 row_mask:0xf bank_mask:0xf// 000000005A4C: 0B8F8EFA FF015B0C
	v_mul_f32_e32 v196, v21, v196                              // 000000005A54: 0B898915
	v_mul_f32_e32 v197, v21, v197                              // 000000005A58: 0B8B8B15
	v_mul_f32_e32 v198, v21, v198                              // 000000005A5C: 0B8D8D15
	v_mul_f32_e32 v199, v21, v199                              // 000000005A60: 0B8F8F15
	v_cvt_f32_i32_e32 v200, v200                               // 000000005A64: 7F900BC8
	v_cvt_f32_i32_e32 v201, v201                               // 000000005A68: 7F920BC9
	v_cvt_f32_i32_e32 v202, v202                               // 000000005A6C: 7F940BCA
	v_cvt_f32_i32_e32 v203, v203                               // 000000005A70: 7F960BCB
	v_mul_f32_e32 v200, v24, v200                              // 000000005A74: 0B919118
	v_mul_f32_e32 v201, v24, v201                              // 000000005A78: 0B939318
	v_mul_f32_e32 v202, v24, v202                              // 000000005A7C: 0B959518
	v_mul_f32_e32 v203, v24, v203                              // 000000005A80: 0B979718
	v_mul_f32_dpp v200, v12, v200 row_newbcast:12 row_mask:0xf bank_mask:0xf// 000000005A84: 0B9190FA FF015C0C
	v_mul_f32_dpp v201, v12, v201 row_newbcast:13 row_mask:0xf bank_mask:0xf// 000000005A8C: 0B9392FA FF015D0C
	v_mul_f32_dpp v202, v12, v202 row_newbcast:14 row_mask:0xf bank_mask:0xf// 000000005A94: 0B9594FA FF015E0C
	v_mul_f32_dpp v203, v12, v203 row_newbcast:15 row_mask:0xf bank_mask:0xf// 000000005A9C: 0B9796FA FF015F0C
	v_mul_f32_e32 v200, v20, v200                              // 000000005AA4: 0B919114
	v_mul_f32_e32 v201, v20, v201                              // 000000005AA8: 0B939314
	v_mul_f32_e32 v202, v20, v202                              // 000000005AAC: 0B959514
	v_mul_f32_e32 v203, v20, v203                              // 000000005AB0: 0B979714
	v_cvt_f32_i32_e32 v204, v204                               // 000000005AB4: 7F980BCC
	v_cvt_f32_i32_e32 v205, v205                               // 000000005AB8: 7F9A0BCD
	v_cvt_f32_i32_e32 v206, v206                               // 000000005ABC: 7F9C0BCE
	v_cvt_f32_i32_e32 v207, v207                               // 000000005AC0: 7F9E0BCF
	v_mul_f32_e32 v204, v25, v204                              // 000000005AC4: 0B999919
	v_mul_f32_e32 v205, v25, v205                              // 000000005AC8: 0B9B9B19
	v_mul_f32_e32 v206, v25, v206                              // 000000005ACC: 0B9D9D19
	v_mul_f32_e32 v207, v25, v207                              // 000000005AD0: 0B9F9F19
	v_mul_f32_dpp v204, v12, v204 row_newbcast:12 row_mask:0xf bank_mask:0xf// 000000005AD4: 0B9998FA FF015C0C
	v_mul_f32_dpp v205, v12, v205 row_newbcast:13 row_mask:0xf bank_mask:0xf// 000000005ADC: 0B9B9AFA FF015D0C
	v_mul_f32_dpp v206, v12, v206 row_newbcast:14 row_mask:0xf bank_mask:0xf// 000000005AE4: 0B9D9CFA FF015E0C
	v_mul_f32_dpp v207, v12, v207 row_newbcast:15 row_mask:0xf bank_mask:0xf// 000000005AEC: 0B9F9EFA FF015F0C
	v_mul_f32_e32 v204, v21, v204                              // 000000005AF4: 0B999915
	v_mul_f32_e32 v205, v21, v205                              // 000000005AF8: 0B9B9B15
	v_mul_f32_e32 v206, v21, v206                              // 000000005AFC: 0B9D9D15
	v_mul_f32_e32 v207, v21, v207                              // 000000005B00: 0B9F9F15
	v_cvt_pkrtz_f16_f32 v176, v176, v177                       // 000000005B04: D29600B0 000363B0
	v_cvt_pkrtz_f16_f32 v177, v178, v179                       // 000000005B0C: D29600B1 000367B2
	v_cvt_pkrtz_f16_f32 v178, v180, v181                       // 000000005B14: D29600B2 00036BB4
	v_cvt_pkrtz_f16_f32 v179, v182, v183                       // 000000005B1C: D29600B3 00036FB6
	v_cvt_pkrtz_f16_f32 v180, v184, v185                       // 000000005B24: D29600B4 000373B8
	v_cvt_pkrtz_f16_f32 v181, v186, v187                       // 000000005B2C: D29600B5 000377BA
	v_cvt_pkrtz_f16_f32 v182, v188, v189                       // 000000005B34: D29600B6 00037BBC
	v_cvt_pkrtz_f16_f32 v183, v190, v191                       // 000000005B3C: D29600B7 00037FBE
	v_cvt_pkrtz_f16_f32 v184, v192, v193                       // 000000005B44: D29600B8 000383C0
	v_cvt_pkrtz_f16_f32 v185, v194, v195                       // 000000005B4C: D29600B9 000387C2
	v_cvt_pkrtz_f16_f32 v186, v196, v197                       // 000000005B54: D29600BA 00038BC4
	v_cvt_pkrtz_f16_f32 v187, v198, v199                       // 000000005B5C: D29600BB 00038FC6
	v_cvt_pkrtz_f16_f32 v188, v200, v201                       // 000000005B64: D29600BC 000393C8
	v_cvt_pkrtz_f16_f32 v189, v202, v203                       // 000000005B6C: D29600BD 000397CA
	v_cvt_pkrtz_f16_f32 v190, v204, v205                       // 000000005B74: D29600BE 00039BCC
	v_cvt_pkrtz_f16_f32 v191, v206, v207                       // 000000005B7C: D29600BF 00039FCE
	ds_write_b64 v3, v[176:177] offset:30976                   // 000000005B84: D89A7900 0000B003
	ds_write_b64 v3, v[178:179] offset:39680                   // 000000005B8C: D89A9B00 0000B203
	ds_write_b64 v3, v[180:181] offset:33152                   // 000000005B94: D89A8180 0000B403
	ds_write_b64 v3, v[182:183] offset:41856                   // 000000005B9C: D89AA380 0000B603
	ds_write_b64 v3, v[184:185] offset:35328                   // 000000005BA4: D89A8A00 0000B803
	ds_write_b64 v3, v[186:187] offset:44032                   // 000000005BAC: D89AAC00 0000BA03
	ds_write_b64 v3, v[188:189] offset:37504                   // 000000005BB4: D89A9280 0000BC03
	ds_write_b64 v3, v[190:191] offset:46208                   // 000000005BBC: D89AB480 0000BE03
	s_waitcnt lgkmcnt(0)                                       // 000000005BC4: BF8CC07F
	s_barrier                                                  // 000000005BC8: BF8A0000
	ds_read_b32 v64, v4 offset:30976                           // 000000005BCC: D86C7900 40000004
	ds_read_b32 v65, v4 offset:35328                           // 000000005BD4: D86C8A00 41000004
	ds_read_b32 v66, v4 offset:31008                           // 000000005BDC: D86C7920 42000004
	ds_read_b32 v67, v4 offset:35360                           // 000000005BE4: D86C8A20 43000004
	ds_read_b32 v68, v4 offset:31040                           // 000000005BEC: D86C7940 44000004
	ds_read_b32 v69, v4 offset:35392                           // 000000005BF4: D86C8A40 45000004
	ds_read_b32 v70, v4 offset:31072                           // 000000005BFC: D86C7960 46000004
	ds_read_b32 v71, v4 offset:35424                           // 000000005C04: D86C8A60 47000004
	ds_read_b32 v72, v4 offset:39680                           // 000000005C0C: D86C9B00 48000004
	ds_read_b32 v73, v4 offset:44032                           // 000000005C14: D86CAC00 49000004
	ds_read_b32 v74, v4 offset:39712                           // 000000005C1C: D86C9B20 4A000004
	ds_read_b32 v75, v4 offset:44064                           // 000000005C24: D86CAC20 4B000004
	ds_read_b32 v76, v4 offset:39744                           // 000000005C2C: D86C9B40 4C000004
	ds_read_b32 v77, v4 offset:44096                           // 000000005C34: D86CAC40 4D000004
	ds_read_b32 v78, v4 offset:39776                           // 000000005C3C: D86C9B60 4E000004
	ds_read_b32 v79, v4 offset:44128                           // 000000005C44: D86CAC60 4F000004
	s_waitcnt lgkmcnt(0)                                       // 000000005C4C: BF8CC07F
	s_mov_b64 exec, s[20:21]                                   // 000000005C50: BEFE0114
	global_atomic_pk_add_f16 v80, v64, s[8:9]                  // 000000005C54: DD388000 00084050
	s_mov_b64 exec, s[36:37]                                   // 000000005C5C: BEFE0124
	s_mov_b64 exec, s[20:21]                                   // 000000005C60: BEFE0114
	global_atomic_pk_add_f16 v80, v65, s[8:9] offset:256       // 000000005C64: DD388100 00084150
	s_mov_b64 exec, s[36:37]                                   // 000000005C6C: BEFE0124
	s_mov_b64 exec, s[22:23]                                   // 000000005C70: BEFE0116
	global_atomic_pk_add_f16 v82, v66, s[8:9]                  // 000000005C74: DD388000 00084252
	s_mov_b64 exec, s[36:37]                                   // 000000005C7C: BEFE0124
	s_mov_b64 exec, s[22:23]                                   // 000000005C80: BEFE0116
	global_atomic_pk_add_f16 v82, v67, s[8:9] offset:256       // 000000005C84: DD388100 00084352
	s_mov_b64 exec, s[36:37]                                   // 000000005C8C: BEFE0124
	s_mov_b64 exec, s[24:25]                                   // 000000005C90: BEFE0118
	global_atomic_pk_add_f16 v84, v68, s[8:9]                  // 000000005C94: DD388000 00084454
	s_mov_b64 exec, s[36:37]                                   // 000000005C9C: BEFE0124
	s_mov_b64 exec, s[24:25]                                   // 000000005CA0: BEFE0118
	global_atomic_pk_add_f16 v84, v69, s[8:9] offset:256       // 000000005CA4: DD388100 00084554
	s_mov_b64 exec, s[36:37]                                   // 000000005CAC: BEFE0124
	s_mov_b64 exec, s[26:27]                                   // 000000005CB0: BEFE011A
	global_atomic_pk_add_f16 v86, v70, s[8:9]                  // 000000005CB4: DD388000 00084656
	s_mov_b64 exec, s[36:37]                                   // 000000005CBC: BEFE0124
	s_mov_b64 exec, s[26:27]                                   // 000000005CC0: BEFE011A
	global_atomic_pk_add_f16 v86, v71, s[8:9] offset:256       // 000000005CC4: DD388100 00084756
	s_mov_b64 exec, s[36:37]                                   // 000000005CCC: BEFE0124
	s_mov_b64 exec, s[28:29]                                   // 000000005CD0: BEFE011C
	global_atomic_pk_add_f16 v88, v72, s[8:9]                  // 000000005CD4: DD388000 00084858
	s_mov_b64 exec, s[36:37]                                   // 000000005CDC: BEFE0124
	s_mov_b64 exec, s[28:29]                                   // 000000005CE0: BEFE011C
	global_atomic_pk_add_f16 v88, v73, s[8:9] offset:256       // 000000005CE4: DD388100 00084958
	s_mov_b64 exec, s[36:37]                                   // 000000005CEC: BEFE0124
	s_mov_b64 exec, s[30:31]                                   // 000000005CF0: BEFE011E
	global_atomic_pk_add_f16 v90, v74, s[8:9]                  // 000000005CF4: DD388000 00084A5A
	s_mov_b64 exec, s[36:37]                                   // 000000005CFC: BEFE0124
	s_mov_b64 exec, s[30:31]                                   // 000000005D00: BEFE011E
	global_atomic_pk_add_f16 v90, v75, s[8:9] offset:256       // 000000005D04: DD388100 00084B5A
	s_mov_b64 exec, s[36:37]                                   // 000000005D0C: BEFE0124
	s_mov_b64 exec, s[32:33]                                   // 000000005D10: BEFE0120
	global_atomic_pk_add_f16 v92, v76, s[8:9]                  // 000000005D14: DD388000 00084C5C
	s_mov_b64 exec, s[36:37]                                   // 000000005D1C: BEFE0124
	s_mov_b64 exec, s[32:33]                                   // 000000005D20: BEFE0120
	global_atomic_pk_add_f16 v92, v77, s[8:9] offset:256       // 000000005D24: DD388100 00084D5C
	s_mov_b64 exec, s[36:37]                                   // 000000005D2C: BEFE0124
	s_mov_b64 exec, s[34:35]                                   // 000000005D30: BEFE0122
	global_atomic_pk_add_f16 v94, v78, s[8:9]                  // 000000005D34: DD388000 00084E5E
	s_mov_b64 exec, s[36:37]                                   // 000000005D3C: BEFE0124
	s_mov_b64 exec, s[34:35]                                   // 000000005D40: BEFE0122
	global_atomic_pk_add_f16 v94, v79, s[8:9] offset:256       // 000000005D44: DD388100 00084F5E
	s_mov_b64 exec, s[36:37]                                   // 000000005D4C: BEFE0124
	s_add_u32 s8, s59, s8                                      // 000000005D50: 8008083B
	s_addc_u32 s9, 0, s9                                       // 000000005D54: 82090980
	s_addk_i32 s80, 0x100                                      // 000000005D58: B7500100
	s_cmp_lt_i32 s80, s81                                      // 000000005D5C: BF045150
	s_cbranch_scc0 label_0E1F                                  // 000000005D60: BF840246
	s_waitcnt vmcnt(37)                                        // 000000005D64: BF8C8F75
	s_barrier                                                  // 000000005D68: BF8A0000
	v_mfma_i32_16x16x32_i8 v[208:211], a[96:97], v[128:129], 0 // 000000005D6C: D3D700D0 0A030160
	v_mfma_i32_16x16x32_i8 v[208:211], a[98:99], v[130:131], v[208:211]// 000000005D74: D3D700D0 0F430562
	buffer_load_dwordx4 a[0:3], v40, s[12:15], 0 offen         // 000000005D7C: E05C1000 80830028
	v_mfma_i32_16x16x32_i8 v[212:215], a[96:97], v[152:153], 0 // 000000005D84: D3D700D4 0A033160
	v_mfma_i32_16x16x32_i8 v[212:215], a[98:99], v[154:155], v[212:215]// 000000005D8C: D3D700D4 0F533562
	v_mfma_i32_16x16x32_i8 v[216:219], a[100:101], v[128:129], 0// 000000005D94: D3D700D8 0A030164
	v_mfma_i32_16x16x32_i8 v[216:219], a[102:103], v[130:131], v[216:219]// 000000005D9C: D3D700D8 0F630566
	buffer_load_dwordx4 a[4:7], v41, s[12:15], 0 offen         // 000000005DA4: E05C1000 80830429
	v_mfma_i32_16x16x32_i8 v[220:223], a[100:101], v[152:153], 0// 000000005DAC: D3D700DC 0A033164
	v_mfma_i32_16x16x32_i8 v[220:223], a[102:103], v[154:155], v[220:223]// 000000005DB4: D3D700DC 0F733566
	v_mfma_i32_16x16x32_i8 v[224:227], a[104:105], v[128:129], 0// 000000005DBC: D3D700E0 0A030168
	v_mfma_i32_16x16x32_i8 v[224:227], a[106:107], v[130:131], v[224:227]// 000000005DC4: D3D700E0 0F83056A
	buffer_load_dwordx4 a[8:11], v42, s[12:15], 0 offen        // 000000005DCC: E05C1000 8083082A
	v_mfma_i32_16x16x32_i8 v[228:231], a[104:105], v[152:153], 0// 000000005DD4: D3D700E4 0A033168
	v_mfma_i32_16x16x32_i8 v[228:231], a[106:107], v[154:155], v[228:231]// 000000005DDC: D3D700E4 0F93356A
	v_mfma_i32_16x16x32_i8 v[232:235], a[108:109], v[128:129], 0// 000000005DE4: D3D700E8 0A03016C
	v_mfma_i32_16x16x32_i8 v[232:235], a[110:111], v[130:131], v[232:235]// 000000005DEC: D3D700E8 0FA3056E
	buffer_load_dwordx4 a[12:15], v43, s[12:15], 0 offen       // 000000005DF4: E05C1000 80830C2B
	s_add_u32 s12, s78, s12                                    // 000000005DFC: 800C0C4E
	s_addc_u32 s13, 0, s13                                     // 000000005E00: 820D0D80
	v_mfma_i32_16x16x32_i8 v[236:239], a[108:109], v[152:153], 0// 000000005E04: D3D700EC 0A03316C
	v_mfma_i32_16x16x32_i8 v[236:239], a[110:111], v[154:155], v[236:239]// 000000005E0C: D3D700EC 0FB3356E
	s_waitcnt vmcnt(37)                                        // 000000005E14: BF8C8F75
	v_mfma_i32_16x16x32_i8 v[208:211], a[112:113], v[132:133], v[208:211]// 000000005E18: D3D700D0 0F430970
	v_mfma_i32_16x16x32_i8 v[208:211], a[114:115], v[134:135], v[208:211]// 000000005E20: D3D700D0 0F430D72
	buffer_load_dwordx4 a[16:19], v40, s[12:15], 0 offen       // 000000005E28: E05C1000 80831028
	v_mfma_i32_16x16x32_i8 v[212:215], a[112:113], v[156:157], v[212:215]// 000000005E30: D3D700D4 0F533970
	v_mfma_i32_16x16x32_i8 v[212:215], a[114:115], v[158:159], v[212:215]// 000000005E38: D3D700D4 0F533D72
	v_mfma_i32_16x16x32_i8 v[216:219], a[116:117], v[132:133], v[216:219]// 000000005E40: D3D700D8 0F630974
	v_mfma_i32_16x16x32_i8 v[216:219], a[118:119], v[134:135], v[216:219]// 000000005E48: D3D700D8 0F630D76
	buffer_load_dwordx4 a[20:23], v41, s[12:15], 0 offen       // 000000005E50: E05C1000 80831429
	v_mfma_i32_16x16x32_i8 v[220:223], a[116:117], v[156:157], v[220:223]// 000000005E58: D3D700DC 0F733974
	v_mfma_i32_16x16x32_i8 v[220:223], a[118:119], v[158:159], v[220:223]// 000000005E60: D3D700DC 0F733D76
	v_mfma_i32_16x16x32_i8 v[224:227], a[120:121], v[132:133], v[224:227]// 000000005E68: D3D700E0 0F830978
	v_mfma_i32_16x16x32_i8 v[224:227], a[122:123], v[134:135], v[224:227]// 000000005E70: D3D700E0 0F830D7A
	buffer_load_dwordx4 a[24:27], v42, s[12:15], 0 offen       // 000000005E78: E05C1000 8083182A
	v_mfma_i32_16x16x32_i8 v[228:231], a[120:121], v[156:157], v[228:231]// 000000005E80: D3D700E4 0F933978
	v_mfma_i32_16x16x32_i8 v[228:231], a[122:123], v[158:159], v[228:231]// 000000005E88: D3D700E4 0F933D7A
	v_mfma_i32_16x16x32_i8 v[232:235], a[124:125], v[132:133], v[232:235]// 000000005E90: D3D700E8 0FA3097C
	v_mfma_i32_16x16x32_i8 v[232:235], a[126:127], v[134:135], v[232:235]// 000000005E98: D3D700E8 0FA30D7E
	buffer_load_dwordx4 a[28:31], v43, s[12:15], 0 offen       // 000000005EA0: E05C1000 80831C2B
	s_add_u32 s12, s78, s12                                    // 000000005EA8: 800C0C4E
	s_addc_u32 s13, 0, s13                                     // 000000005EAC: 820D0D80
	v_mfma_i32_16x16x32_i8 v[236:239], a[124:125], v[156:157], v[236:239]// 000000005EB0: D3D700EC 0FB3397C
	v_mfma_i32_16x16x32_i8 v[236:239], a[126:127], v[158:159], v[236:239]// 000000005EB8: D3D700EC 0FB33D7E
	s_waitcnt vmcnt(37)                                        // 000000005EC0: BF8C8F75
	v_mfma_i32_16x16x32_i8 v[208:211], a[128:129], v[136:137], v[208:211]// 000000005EC4: D3D700D0 0F431180
	v_mfma_i32_16x16x32_i8 v[208:211], a[130:131], v[138:139], v[208:211]// 000000005ECC: D3D700D0 0F431582
	buffer_load_dwordx4 a[32:35], v40, s[12:15], 0 offen       // 000000005ED4: E05C1000 80832028
	v_mfma_i32_16x16x32_i8 v[212:215], a[128:129], v[160:161], v[212:215]// 000000005EDC: D3D700D4 0F534180
	v_mfma_i32_16x16x32_i8 v[212:215], a[130:131], v[162:163], v[212:215]// 000000005EE4: D3D700D4 0F534582
	v_mfma_i32_16x16x32_i8 v[216:219], a[132:133], v[136:137], v[216:219]// 000000005EEC: D3D700D8 0F631184
	v_mfma_i32_16x16x32_i8 v[216:219], a[134:135], v[138:139], v[216:219]// 000000005EF4: D3D700D8 0F631586
	buffer_load_dwordx4 a[36:39], v41, s[12:15], 0 offen       // 000000005EFC: E05C1000 80832429
	v_mfma_i32_16x16x32_i8 v[220:223], a[132:133], v[160:161], v[220:223]// 000000005F04: D3D700DC 0F734184
	v_mfma_i32_16x16x32_i8 v[220:223], a[134:135], v[162:163], v[220:223]// 000000005F0C: D3D700DC 0F734586
	v_mfma_i32_16x16x32_i8 v[224:227], a[136:137], v[136:137], v[224:227]// 000000005F14: D3D700E0 0F831188
	v_mfma_i32_16x16x32_i8 v[224:227], a[138:139], v[138:139], v[224:227]// 000000005F1C: D3D700E0 0F83158A
	buffer_load_dwordx4 a[40:43], v42, s[12:15], 0 offen       // 000000005F24: E05C1000 8083282A
	v_mfma_i32_16x16x32_i8 v[228:231], a[136:137], v[160:161], v[228:231]// 000000005F2C: D3D700E4 0F934188
	v_mfma_i32_16x16x32_i8 v[228:231], a[138:139], v[162:163], v[228:231]// 000000005F34: D3D700E4 0F93458A
	v_mfma_i32_16x16x32_i8 v[232:235], a[140:141], v[136:137], v[232:235]// 000000005F3C: D3D700E8 0FA3118C
	v_mfma_i32_16x16x32_i8 v[232:235], a[142:143], v[138:139], v[232:235]// 000000005F44: D3D700E8 0FA3158E
	buffer_load_dwordx4 a[44:47], v43, s[12:15], 0 offen       // 000000005F4C: E05C1000 80832C2B
	s_add_u32 s12, s78, s12                                    // 000000005F54: 800C0C4E
	s_addc_u32 s13, 0, s13                                     // 000000005F58: 820D0D80
	v_mfma_i32_16x16x32_i8 v[236:239], a[140:141], v[160:161], v[236:239]// 000000005F5C: D3D700EC 0FB3418C
	v_mfma_i32_16x16x32_i8 v[236:239], a[142:143], v[162:163], v[236:239]// 000000005F64: D3D700EC 0FB3458E
	s_waitcnt vmcnt(37)                                        // 000000005F6C: BF8C8F75
	v_mfma_i32_16x16x32_i8 v[208:211], a[144:145], v[140:141], v[208:211]// 000000005F70: D3D700D0 0F431990
	v_mfma_i32_16x16x32_i8 v[208:211], a[146:147], v[142:143], v[208:211]// 000000005F78: D3D700D0 0F431D92
	buffer_load_dwordx4 a[48:51], v40, s[12:15], 0 offen       // 000000005F80: E05C1000 80833028
	v_mfma_i32_16x16x32_i8 v[212:215], a[144:145], v[164:165], v[212:215]// 000000005F88: D3D700D4 0F534990
	v_mfma_i32_16x16x32_i8 v[212:215], a[146:147], v[166:167], v[212:215]// 000000005F90: D3D700D4 0F534D92
	v_mfma_i32_16x16x32_i8 v[216:219], a[148:149], v[140:141], v[216:219]// 000000005F98: D3D700D8 0F631994
	v_mfma_i32_16x16x32_i8 v[216:219], a[150:151], v[142:143], v[216:219]// 000000005FA0: D3D700D8 0F631D96
	buffer_load_dwordx4 a[52:55], v41, s[12:15], 0 offen       // 000000005FA8: E05C1000 80833429
	v_mfma_i32_16x16x32_i8 v[220:223], a[148:149], v[164:165], v[220:223]// 000000005FB0: D3D700DC 0F734994
	v_mfma_i32_16x16x32_i8 v[220:223], a[150:151], v[166:167], v[220:223]// 000000005FB8: D3D700DC 0F734D96
	v_mfma_i32_16x16x32_i8 v[224:227], a[152:153], v[140:141], v[224:227]// 000000005FC0: D3D700E0 0F831998
	v_mfma_i32_16x16x32_i8 v[224:227], a[154:155], v[142:143], v[224:227]// 000000005FC8: D3D700E0 0F831D9A
	buffer_load_dwordx4 a[56:59], v42, s[12:15], 0 offen       // 000000005FD0: E05C1000 8083382A
	v_mfma_i32_16x16x32_i8 v[228:231], a[152:153], v[164:165], v[228:231]// 000000005FD8: D3D700E4 0F934998
	v_mfma_i32_16x16x32_i8 v[228:231], a[154:155], v[166:167], v[228:231]// 000000005FE0: D3D700E4 0F934D9A
	v_mfma_i32_16x16x32_i8 v[232:235], a[156:157], v[140:141], v[232:235]// 000000005FE8: D3D700E8 0FA3199C
	v_mfma_i32_16x16x32_i8 v[232:235], a[158:159], v[142:143], v[232:235]// 000000005FF0: D3D700E8 0FA31D9E
	buffer_load_dwordx4 a[60:63], v43, s[12:15], 0 offen       // 000000005FF8: E05C1000 80833C2B
	s_add_u32 s12, s78, s12                                    // 000000006000: 800C0C4E
	s_addc_u32 s13, 0, s13                                     // 000000006004: 820D0D80
	v_mfma_i32_16x16x32_i8 v[236:239], a[156:157], v[164:165], v[236:239]// 000000006008: D3D700EC 0FB3499C
	v_mfma_i32_16x16x32_i8 v[236:239], a[158:159], v[166:167], v[236:239]// 000000006010: D3D700EC 0FB34D9E
	s_waitcnt vmcnt(37)                                        // 000000006018: BF8C8F75
	v_mfma_i32_16x16x32_i8 v[208:211], a[160:161], v[144:145], v[208:211]// 00000000601C: D3D700D0 0F4321A0
	v_mfma_i32_16x16x32_i8 v[208:211], a[162:163], v[146:147], v[208:211]// 000000006024: D3D700D0 0F4325A2
	buffer_load_dwordx4 a[64:67], v40, s[12:15], 0 offen       // 00000000602C: E05C1000 80834028
	v_mfma_i32_16x16x32_i8 v[212:215], a[160:161], v[168:169], v[212:215]// 000000006034: D3D700D4 0F5351A0
	v_mfma_i32_16x16x32_i8 v[212:215], a[162:163], v[170:171], v[212:215]// 00000000603C: D3D700D4 0F5355A2
	v_mfma_i32_16x16x32_i8 v[216:219], a[164:165], v[144:145], v[216:219]// 000000006044: D3D700D8 0F6321A4
	v_mfma_i32_16x16x32_i8 v[216:219], a[166:167], v[146:147], v[216:219]// 00000000604C: D3D700D8 0F6325A6
	buffer_load_dwordx4 a[68:71], v41, s[12:15], 0 offen       // 000000006054: E05C1000 80834429
	v_mfma_i32_16x16x32_i8 v[220:223], a[164:165], v[168:169], v[220:223]// 00000000605C: D3D700DC 0F7351A4
	v_mfma_i32_16x16x32_i8 v[220:223], a[166:167], v[170:171], v[220:223]// 000000006064: D3D700DC 0F7355A6
	v_mfma_i32_16x16x32_i8 v[224:227], a[168:169], v[144:145], v[224:227]// 00000000606C: D3D700E0 0F8321A8
	v_mfma_i32_16x16x32_i8 v[224:227], a[170:171], v[146:147], v[224:227]// 000000006074: D3D700E0 0F8325AA
	buffer_load_dwordx4 a[72:75], v42, s[12:15], 0 offen       // 00000000607C: E05C1000 8083482A
	v_mfma_i32_16x16x32_i8 v[228:231], a[168:169], v[168:169], v[228:231]// 000000006084: D3D700E4 0F9351A8
	v_mfma_i32_16x16x32_i8 v[228:231], a[170:171], v[170:171], v[228:231]// 00000000608C: D3D700E4 0F9355AA
	v_mfma_i32_16x16x32_i8 v[232:235], a[172:173], v[144:145], v[232:235]// 000000006094: D3D700E8 0FA321AC
	v_mfma_i32_16x16x32_i8 v[232:235], a[174:175], v[146:147], v[232:235]// 00000000609C: D3D700E8 0FA325AE
	buffer_load_dwordx4 a[76:79], v43, s[12:15], 0 offen       // 0000000060A4: E05C1000 80834C2B
	s_add_u32 s12, s78, s12                                    // 0000000060AC: 800C0C4E
	s_addc_u32 s13, 0, s13                                     // 0000000060B0: 820D0D80
	v_mfma_i32_16x16x32_i8 v[236:239], a[172:173], v[168:169], v[236:239]// 0000000060B4: D3D700EC 0FB351AC
	v_mfma_i32_16x16x32_i8 v[236:239], a[174:175], v[170:171], v[236:239]// 0000000060BC: D3D700EC 0FB355AE
	s_waitcnt vmcnt(36)                                        // 0000000060C4: BF8C8F74
	v_mfma_i32_16x16x32_i8 v[208:211], a[176:177], v[148:149], v[208:211]// 0000000060C8: D3D700D0 0F4329B0
	v_mfma_i32_16x16x32_i8 v[208:211], a[178:179], v[150:151], v[208:211]// 0000000060D0: D3D700D0 0F432DB2
	buffer_load_dwordx4 a[80:83], v40, s[12:15], 0 offen       // 0000000060D8: E05C1000 80835028
	v_mfma_i32_16x16x32_i8 v[212:215], a[176:177], v[172:173], v[212:215]// 0000000060E0: D3D700D4 0F5359B0
	v_mfma_i32_16x16x32_i8 v[212:215], a[178:179], v[174:175], v[212:215]// 0000000060E8: D3D700D4 0F535DB2
	buffer_load_dword v12, v5, s[16:19], 0 offen               // 0000000060F0: E0501000 80040C05
	v_mfma_i32_16x16x32_i8 v[216:219], a[180:181], v[148:149], v[216:219]// 0000000060F8: D3D700D8 0F6329B4
	v_mfma_i32_16x16x32_i8 v[216:219], a[182:183], v[150:151], v[216:219]// 000000006100: D3D700D8 0F632DB6
	buffer_load_dwordx4 a[84:87], v41, s[12:15], 0 offen       // 000000006108: E05C1000 80835429
	v_mfma_i32_16x16x32_i8 v[220:223], a[180:181], v[172:173], v[220:223]// 000000006110: D3D700DC 0F7359B4
	v_mfma_i32_16x16x32_i8 v[220:223], a[182:183], v[174:175], v[220:223]// 000000006118: D3D700DC 0F735DB6
	v_mfma_i32_16x16x32_i8 v[224:227], a[184:185], v[148:149], v[224:227]// 000000006120: D3D700E0 0F8329B8
	v_mfma_i32_16x16x32_i8 v[224:227], a[186:187], v[150:151], v[224:227]// 000000006128: D3D700E0 0F832DBA
	buffer_load_dwordx4 a[88:91], v42, s[12:15], 0 offen       // 000000006130: E05C1000 8083582A
	v_mfma_i32_16x16x32_i8 v[228:231], a[184:185], v[172:173], v[228:231]// 000000006138: D3D700E4 0F9359B8
	v_mfma_i32_16x16x32_i8 v[228:231], a[186:187], v[174:175], v[228:231]// 000000006140: D3D700E4 0F935DBA
	v_mfma_i32_16x16x32_i8 v[232:235], a[188:189], v[148:149], v[232:235]// 000000006148: D3D700E8 0FA329BC
	v_mfma_i32_16x16x32_i8 v[232:235], a[190:191], v[150:151], v[232:235]// 000000006150: D3D700E8 0FA32DBE
	buffer_load_dwordx4 a[92:95], v43, s[12:15], 0 offen       // 000000006158: E05C1000 80835C2B
	v_mfma_i32_16x16x32_i8 v[236:239], a[188:189], v[172:173], v[236:239]// 000000006160: D3D700EC 0FB359BC
	v_mfma_i32_16x16x32_i8 v[236:239], a[190:191], v[174:175], v[236:239]// 000000006168: D3D700EC 0FB35DBE
	s_add_u32 s60, 0x200, s80                                  // 000000006170: 803C50FF 00000200
	s_cmp_lt_u32 s60, s81                                      // 000000006178: BF0A513C
	s_cselect_b32 s56, s56, 0                                  // 00000000617C: 85388038
	s_cselect_b32 s78, s78, 0                                  // 000000006180: 854E804E
	s_cselect_b32 s79, s79, 0                                  // 000000006184: 854F804F
	s_add_u32 s12, s56, s12                                    // 000000006188: 800C0C38
	s_addc_u32 s13, 0, s13                                     // 00000000618C: 820D0D80
	s_add_u32 s16, s79, s16                                    // 000000006190: 8010104F
	s_addc_u32 s17, 0, s17                                     // 000000006194: 82111180
	v_cvt_f32_i32_e32 v208, v208                               // 000000006198: 7FA00BD0
	v_cvt_f32_i32_e32 v209, v209                               // 00000000619C: 7FA20BD1
	v_cvt_f32_i32_e32 v210, v210                               // 0000000061A0: 7FA40BD2
	v_cvt_f32_i32_e32 v211, v211                               // 0000000061A4: 7FA60BD3
	v_mul_f32_e32 v208, v24, v208                              // 0000000061A8: 0BA1A118
	v_mul_f32_e32 v209, v24, v209                              // 0000000061AC: 0BA3A318
	v_mul_f32_e32 v210, v24, v210                              // 0000000061B0: 0BA5A518
	v_mul_f32_e32 v211, v24, v211                              // 0000000061B4: 0BA7A718
	v_mul_f32_dpp v208, v13, v208 row_newbcast:0 row_mask:0xf bank_mask:0xf// 0000000061B8: 0BA1A0FA FF01500D
	v_mul_f32_dpp v209, v13, v209 row_newbcast:1 row_mask:0xf bank_mask:0xf// 0000000061C0: 0BA3A2FA FF01510D
	v_mul_f32_dpp v210, v13, v210 row_newbcast:2 row_mask:0xf bank_mask:0xf// 0000000061C8: 0BA5A4FA FF01520D
	v_mul_f32_dpp v211, v13, v211 row_newbcast:3 row_mask:0xf bank_mask:0xf// 0000000061D0: 0BA7A6FA FF01530D
	v_mul_f32_e32 v208, v20, v208                              // 0000000061D8: 0BA1A114
	v_mul_f32_e32 v209, v20, v209                              // 0000000061DC: 0BA3A314
	v_mul_f32_e32 v210, v20, v210                              // 0000000061E0: 0BA5A514
	v_mul_f32_e32 v211, v20, v211                              // 0000000061E4: 0BA7A714
	v_cvt_f32_i32_e32 v212, v212                               // 0000000061E8: 7FA80BD4
	v_cvt_f32_i32_e32 v213, v213                               // 0000000061EC: 7FAA0BD5
	v_cvt_f32_i32_e32 v214, v214                               // 0000000061F0: 7FAC0BD6
	v_cvt_f32_i32_e32 v215, v215                               // 0000000061F4: 7FAE0BD7
	v_mul_f32_e32 v212, v25, v212                              // 0000000061F8: 0BA9A919
	v_mul_f32_e32 v213, v25, v213                              // 0000000061FC: 0BABAB19
	v_mul_f32_e32 v214, v25, v214                              // 000000006200: 0BADAD19
	v_mul_f32_e32 v215, v25, v215                              // 000000006204: 0BAFAF19
	v_mul_f32_dpp v212, v13, v212 row_newbcast:0 row_mask:0xf bank_mask:0xf// 000000006208: 0BA9A8FA FF01500D
	v_mul_f32_dpp v213, v13, v213 row_newbcast:1 row_mask:0xf bank_mask:0xf// 000000006210: 0BABAAFA FF01510D
	v_mul_f32_dpp v214, v13, v214 row_newbcast:2 row_mask:0xf bank_mask:0xf// 000000006218: 0BADACFA FF01520D
	v_mul_f32_dpp v215, v13, v215 row_newbcast:3 row_mask:0xf bank_mask:0xf// 000000006220: 0BAFAEFA FF01530D
	v_mul_f32_e32 v212, v21, v212                              // 000000006228: 0BA9A915
	v_mul_f32_e32 v213, v21, v213                              // 00000000622C: 0BABAB15
	v_mul_f32_e32 v214, v21, v214                              // 000000006230: 0BADAD15
	v_mul_f32_e32 v215, v21, v215                              // 000000006234: 0BAFAF15
	v_cvt_f32_i32_e32 v216, v216                               // 000000006238: 7FB00BD8
	v_cvt_f32_i32_e32 v217, v217                               // 00000000623C: 7FB20BD9
	v_cvt_f32_i32_e32 v218, v218                               // 000000006240: 7FB40BDA
	v_cvt_f32_i32_e32 v219, v219                               // 000000006244: 7FB60BDB
	v_mul_f32_e32 v216, v24, v216                              // 000000006248: 0BB1B118
	v_mul_f32_e32 v217, v24, v217                              // 00000000624C: 0BB3B318
	v_mul_f32_e32 v218, v24, v218                              // 000000006250: 0BB5B518
	v_mul_f32_e32 v219, v24, v219                              // 000000006254: 0BB7B718
	v_mul_f32_dpp v216, v13, v216 row_newbcast:4 row_mask:0xf bank_mask:0xf// 000000006258: 0BB1B0FA FF01540D
	v_mul_f32_dpp v217, v13, v217 row_newbcast:5 row_mask:0xf bank_mask:0xf// 000000006260: 0BB3B2FA FF01550D
	v_mul_f32_dpp v218, v13, v218 row_newbcast:6 row_mask:0xf bank_mask:0xf// 000000006268: 0BB5B4FA FF01560D
	v_mul_f32_dpp v219, v13, v219 row_newbcast:7 row_mask:0xf bank_mask:0xf// 000000006270: 0BB7B6FA FF01570D
	v_mul_f32_e32 v216, v20, v216                              // 000000006278: 0BB1B114
	v_mul_f32_e32 v217, v20, v217                              // 00000000627C: 0BB3B314
	v_mul_f32_e32 v218, v20, v218                              // 000000006280: 0BB5B514
	v_mul_f32_e32 v219, v20, v219                              // 000000006284: 0BB7B714
	v_cvt_f32_i32_e32 v220, v220                               // 000000006288: 7FB80BDC
	v_cvt_f32_i32_e32 v221, v221                               // 00000000628C: 7FBA0BDD
	v_cvt_f32_i32_e32 v222, v222                               // 000000006290: 7FBC0BDE
	v_cvt_f32_i32_e32 v223, v223                               // 000000006294: 7FBE0BDF
	v_mul_f32_e32 v220, v25, v220                              // 000000006298: 0BB9B919
	v_mul_f32_e32 v221, v25, v221                              // 00000000629C: 0BBBBB19
	v_mul_f32_e32 v222, v25, v222                              // 0000000062A0: 0BBDBD19
	v_mul_f32_e32 v223, v25, v223                              // 0000000062A4: 0BBFBF19
	v_mul_f32_dpp v220, v13, v220 row_newbcast:4 row_mask:0xf bank_mask:0xf// 0000000062A8: 0BB9B8FA FF01540D
	v_mul_f32_dpp v221, v13, v221 row_newbcast:5 row_mask:0xf bank_mask:0xf// 0000000062B0: 0BBBBAFA FF01550D
	v_mul_f32_dpp v222, v13, v222 row_newbcast:6 row_mask:0xf bank_mask:0xf// 0000000062B8: 0BBDBCFA FF01560D
	v_mul_f32_dpp v223, v13, v223 row_newbcast:7 row_mask:0xf bank_mask:0xf// 0000000062C0: 0BBFBEFA FF01570D
	v_mul_f32_e32 v220, v21, v220                              // 0000000062C8: 0BB9B915
	v_mul_f32_e32 v221, v21, v221                              // 0000000062CC: 0BBBBB15
	v_mul_f32_e32 v222, v21, v222                              // 0000000062D0: 0BBDBD15
	v_mul_f32_e32 v223, v21, v223                              // 0000000062D4: 0BBFBF15
	v_cvt_f32_i32_e32 v224, v224                               // 0000000062D8: 7FC00BE0
	v_cvt_f32_i32_e32 v225, v225                               // 0000000062DC: 7FC20BE1
	v_cvt_f32_i32_e32 v226, v226                               // 0000000062E0: 7FC40BE2
	v_cvt_f32_i32_e32 v227, v227                               // 0000000062E4: 7FC60BE3
	v_mul_f32_e32 v224, v24, v224                              // 0000000062E8: 0BC1C118
	v_mul_f32_e32 v225, v24, v225                              // 0000000062EC: 0BC3C318
	v_mul_f32_e32 v226, v24, v226                              // 0000000062F0: 0BC5C518
	v_mul_f32_e32 v227, v24, v227                              // 0000000062F4: 0BC7C718
	v_mul_f32_dpp v224, v13, v224 row_newbcast:8 row_mask:0xf bank_mask:0xf// 0000000062F8: 0BC1C0FA FF01580D
	v_mul_f32_dpp v225, v13, v225 row_newbcast:9 row_mask:0xf bank_mask:0xf// 000000006300: 0BC3C2FA FF01590D
	v_mul_f32_dpp v226, v13, v226 row_newbcast:10 row_mask:0xf bank_mask:0xf// 000000006308: 0BC5C4FA FF015A0D
	v_mul_f32_dpp v227, v13, v227 row_newbcast:11 row_mask:0xf bank_mask:0xf// 000000006310: 0BC7C6FA FF015B0D
	v_mul_f32_e32 v224, v20, v224                              // 000000006318: 0BC1C114
	v_mul_f32_e32 v225, v20, v225                              // 00000000631C: 0BC3C314
	v_mul_f32_e32 v226, v20, v226                              // 000000006320: 0BC5C514
	v_mul_f32_e32 v227, v20, v227                              // 000000006324: 0BC7C714
	v_cvt_f32_i32_e32 v228, v228                               // 000000006328: 7FC80BE4
	v_cvt_f32_i32_e32 v229, v229                               // 00000000632C: 7FCA0BE5
	v_cvt_f32_i32_e32 v230, v230                               // 000000006330: 7FCC0BE6
	v_cvt_f32_i32_e32 v231, v231                               // 000000006334: 7FCE0BE7
	v_mul_f32_e32 v228, v25, v228                              // 000000006338: 0BC9C919
	v_mul_f32_e32 v229, v25, v229                              // 00000000633C: 0BCBCB19
	v_mul_f32_e32 v230, v25, v230                              // 000000006340: 0BCDCD19
	v_mul_f32_e32 v231, v25, v231                              // 000000006344: 0BCFCF19
	v_mul_f32_dpp v228, v13, v228 row_newbcast:8 row_mask:0xf bank_mask:0xf// 000000006348: 0BC9C8FA FF01580D
	v_mul_f32_dpp v229, v13, v229 row_newbcast:9 row_mask:0xf bank_mask:0xf// 000000006350: 0BCBCAFA FF01590D
	v_mul_f32_dpp v230, v13, v230 row_newbcast:10 row_mask:0xf bank_mask:0xf// 000000006358: 0BCDCCFA FF015A0D
	v_mul_f32_dpp v231, v13, v231 row_newbcast:11 row_mask:0xf bank_mask:0xf// 000000006360: 0BCFCEFA FF015B0D
	v_mul_f32_e32 v228, v21, v228                              // 000000006368: 0BC9C915
	v_mul_f32_e32 v229, v21, v229                              // 00000000636C: 0BCBCB15
	v_mul_f32_e32 v230, v21, v230                              // 000000006370: 0BCDCD15
	v_mul_f32_e32 v231, v21, v231                              // 000000006374: 0BCFCF15
	v_cvt_f32_i32_e32 v232, v232                               // 000000006378: 7FD00BE8
	v_cvt_f32_i32_e32 v233, v233                               // 00000000637C: 7FD20BE9
	v_cvt_f32_i32_e32 v234, v234                               // 000000006380: 7FD40BEA
	v_cvt_f32_i32_e32 v235, v235                               // 000000006384: 7FD60BEB
	v_mul_f32_e32 v232, v24, v232                              // 000000006388: 0BD1D118
	v_mul_f32_e32 v233, v24, v233                              // 00000000638C: 0BD3D318
	v_mul_f32_e32 v234, v24, v234                              // 000000006390: 0BD5D518
	v_mul_f32_e32 v235, v24, v235                              // 000000006394: 0BD7D718
	v_mul_f32_dpp v232, v13, v232 row_newbcast:12 row_mask:0xf bank_mask:0xf// 000000006398: 0BD1D0FA FF015C0D
	v_mul_f32_dpp v233, v13, v233 row_newbcast:13 row_mask:0xf bank_mask:0xf// 0000000063A0: 0BD3D2FA FF015D0D
	v_mul_f32_dpp v234, v13, v234 row_newbcast:14 row_mask:0xf bank_mask:0xf// 0000000063A8: 0BD5D4FA FF015E0D
	v_mul_f32_dpp v235, v13, v235 row_newbcast:15 row_mask:0xf bank_mask:0xf// 0000000063B0: 0BD7D6FA FF015F0D
	v_mul_f32_e32 v232, v20, v232                              // 0000000063B8: 0BD1D114
	v_mul_f32_e32 v233, v20, v233                              // 0000000063BC: 0BD3D314
	v_mul_f32_e32 v234, v20, v234                              // 0000000063C0: 0BD5D514
	v_mul_f32_e32 v235, v20, v235                              // 0000000063C4: 0BD7D714
	v_cvt_f32_i32_e32 v236, v236                               // 0000000063C8: 7FD80BEC
	v_cvt_f32_i32_e32 v237, v237                               // 0000000063CC: 7FDA0BED
	v_cvt_f32_i32_e32 v238, v238                               // 0000000063D0: 7FDC0BEE
	v_cvt_f32_i32_e32 v239, v239                               // 0000000063D4: 7FDE0BEF
	v_mul_f32_e32 v236, v25, v236                              // 0000000063D8: 0BD9D919
	v_mul_f32_e32 v237, v25, v237                              // 0000000063DC: 0BDBDB19
	v_mul_f32_e32 v238, v25, v238                              // 0000000063E0: 0BDDDD19
	v_mul_f32_e32 v239, v25, v239                              // 0000000063E4: 0BDFDF19
	v_mul_f32_dpp v236, v13, v236 row_newbcast:12 row_mask:0xf bank_mask:0xf// 0000000063E8: 0BD9D8FA FF015C0D
	v_mul_f32_dpp v237, v13, v237 row_newbcast:13 row_mask:0xf bank_mask:0xf// 0000000063F0: 0BDBDAFA FF015D0D
	v_mul_f32_dpp v238, v13, v238 row_newbcast:14 row_mask:0xf bank_mask:0xf// 0000000063F8: 0BDDDCFA FF015E0D
	v_mul_f32_dpp v239, v13, v239 row_newbcast:15 row_mask:0xf bank_mask:0xf// 000000006400: 0BDFDEFA FF015F0D
	v_mul_f32_e32 v236, v21, v236                              // 000000006408: 0BD9D915
	v_mul_f32_e32 v237, v21, v237                              // 00000000640C: 0BDBDB15
	v_mul_f32_e32 v238, v21, v238                              // 000000006410: 0BDDDD15
	v_mul_f32_e32 v239, v21, v239                              // 000000006414: 0BDFDF15
	v_cvt_pkrtz_f16_f32 v208, v208, v209                       // 000000006418: D29600D0 0003A3D0
	v_cvt_pkrtz_f16_f32 v209, v210, v211                       // 000000006420: D29600D1 0003A7D2
	v_cvt_pkrtz_f16_f32 v210, v212, v213                       // 000000006428: D29600D2 0003ABD4
	v_cvt_pkrtz_f16_f32 v211, v214, v215                       // 000000006430: D29600D3 0003AFD6
	v_cvt_pkrtz_f16_f32 v212, v216, v217                       // 000000006438: D29600D4 0003B3D8
	v_cvt_pkrtz_f16_f32 v213, v218, v219                       // 000000006440: D29600D5 0003B7DA
	v_cvt_pkrtz_f16_f32 v214, v220, v221                       // 000000006448: D29600D6 0003BBDC
	v_cvt_pkrtz_f16_f32 v215, v222, v223                       // 000000006450: D29600D7 0003BFDE
	v_cvt_pkrtz_f16_f32 v216, v224, v225                       // 000000006458: D29600D8 0003C3E0
	v_cvt_pkrtz_f16_f32 v217, v226, v227                       // 000000006460: D29600D9 0003C7E2
	v_cvt_pkrtz_f16_f32 v218, v228, v229                       // 000000006468: D29600DA 0003CBE4
	v_cvt_pkrtz_f16_f32 v219, v230, v231                       // 000000006470: D29600DB 0003CFE6
	v_cvt_pkrtz_f16_f32 v220, v232, v233                       // 000000006478: D29600DC 0003D3E8
	v_cvt_pkrtz_f16_f32 v221, v234, v235                       // 000000006480: D29600DD 0003D7EA
	v_cvt_pkrtz_f16_f32 v222, v236, v237                       // 000000006488: D29600DE 0003DBEC
	v_cvt_pkrtz_f16_f32 v223, v238, v239                       // 000000006490: D29600DF 0003DFEE
	ds_write_b64 v3, v[208:209] offset:30976                   // 000000006498: D89A7900 0000D003
	ds_write_b64 v3, v[210:211] offset:39680                   // 0000000064A0: D89A9B00 0000D203
	ds_write_b64 v3, v[212:213] offset:33152                   // 0000000064A8: D89A8180 0000D403
	ds_write_b64 v3, v[214:215] offset:41856                   // 0000000064B0: D89AA380 0000D603
	ds_write_b64 v3, v[216:217] offset:35328                   // 0000000064B8: D89A8A00 0000D803
	ds_write_b64 v3, v[218:219] offset:44032                   // 0000000064C0: D89AAC00 0000DA03
	ds_write_b64 v3, v[220:221] offset:37504                   // 0000000064C8: D89A9280 0000DC03
	ds_write_b64 v3, v[222:223] offset:46208                   // 0000000064D0: D89AB480 0000DE03
	s_waitcnt lgkmcnt(0)                                       // 0000000064D8: BF8CC07F
	s_barrier                                                  // 0000000064DC: BF8A0000
	ds_read_b32 v64, v4 offset:30976                           // 0000000064E0: D86C7900 40000004
	ds_read_b32 v65, v4 offset:35328                           // 0000000064E8: D86C8A00 41000004
	ds_read_b32 v66, v4 offset:31008                           // 0000000064F0: D86C7920 42000004
	ds_read_b32 v67, v4 offset:35360                           // 0000000064F8: D86C8A20 43000004
	ds_read_b32 v68, v4 offset:31040                           // 000000006500: D86C7940 44000004
	ds_read_b32 v69, v4 offset:35392                           // 000000006508: D86C8A40 45000004
	ds_read_b32 v70, v4 offset:31072                           // 000000006510: D86C7960 46000004
	ds_read_b32 v71, v4 offset:35424                           // 000000006518: D86C8A60 47000004
	ds_read_b32 v72, v4 offset:39680                           // 000000006520: D86C9B00 48000004
	ds_read_b32 v73, v4 offset:44032                           // 000000006528: D86CAC00 49000004
	ds_read_b32 v74, v4 offset:39712                           // 000000006530: D86C9B20 4A000004
	ds_read_b32 v75, v4 offset:44064                           // 000000006538: D86CAC20 4B000004
	ds_read_b32 v76, v4 offset:39744                           // 000000006540: D86C9B40 4C000004
	ds_read_b32 v77, v4 offset:44096                           // 000000006548: D86CAC40 4D000004
	ds_read_b32 v78, v4 offset:39776                           // 000000006550: D86C9B60 4E000004
	ds_read_b32 v79, v4 offset:44128                           // 000000006558: D86CAC60 4F000004
	s_waitcnt lgkmcnt(0)                                       // 000000006560: BF8CC07F
	s_mov_b64 exec, s[20:21]                                   // 000000006564: BEFE0114
	global_atomic_pk_add_f16 v80, v64, s[8:9]                  // 000000006568: DD388000 00084050
	s_mov_b64 exec, s[36:37]                                   // 000000006570: BEFE0124
	s_mov_b64 exec, s[20:21]                                   // 000000006574: BEFE0114
	global_atomic_pk_add_f16 v80, v65, s[8:9] offset:256       // 000000006578: DD388100 00084150
	s_mov_b64 exec, s[36:37]                                   // 000000006580: BEFE0124
	s_mov_b64 exec, s[22:23]                                   // 000000006584: BEFE0116
	global_atomic_pk_add_f16 v82, v66, s[8:9]                  // 000000006588: DD388000 00084252
	s_mov_b64 exec, s[36:37]                                   // 000000006590: BEFE0124
	s_mov_b64 exec, s[22:23]                                   // 000000006594: BEFE0116
	global_atomic_pk_add_f16 v82, v67, s[8:9] offset:256       // 000000006598: DD388100 00084352
	s_mov_b64 exec, s[36:37]                                   // 0000000065A0: BEFE0124
	s_mov_b64 exec, s[24:25]                                   // 0000000065A4: BEFE0118
	global_atomic_pk_add_f16 v84, v68, s[8:9]                  // 0000000065A8: DD388000 00084454
	s_mov_b64 exec, s[36:37]                                   // 0000000065B0: BEFE0124
	s_mov_b64 exec, s[24:25]                                   // 0000000065B4: BEFE0118
	global_atomic_pk_add_f16 v84, v69, s[8:9] offset:256       // 0000000065B8: DD388100 00084554
	s_mov_b64 exec, s[36:37]                                   // 0000000065C0: BEFE0124
	s_mov_b64 exec, s[26:27]                                   // 0000000065C4: BEFE011A
	global_atomic_pk_add_f16 v86, v70, s[8:9]                  // 0000000065C8: DD388000 00084656
	s_mov_b64 exec, s[36:37]                                   // 0000000065D0: BEFE0124
	s_mov_b64 exec, s[26:27]                                   // 0000000065D4: BEFE011A
	global_atomic_pk_add_f16 v86, v71, s[8:9] offset:256       // 0000000065D8: DD388100 00084756
	s_mov_b64 exec, s[36:37]                                   // 0000000065E0: BEFE0124
	s_mov_b64 exec, s[28:29]                                   // 0000000065E4: BEFE011C
	global_atomic_pk_add_f16 v88, v72, s[8:9]                  // 0000000065E8: DD388000 00084858
	s_mov_b64 exec, s[36:37]                                   // 0000000065F0: BEFE0124
	s_mov_b64 exec, s[28:29]                                   // 0000000065F4: BEFE011C
	global_atomic_pk_add_f16 v88, v73, s[8:9] offset:256       // 0000000065F8: DD388100 00084958
	s_mov_b64 exec, s[36:37]                                   // 000000006600: BEFE0124
	s_mov_b64 exec, s[30:31]                                   // 000000006604: BEFE011E
	global_atomic_pk_add_f16 v90, v74, s[8:9]                  // 000000006608: DD388000 00084A5A
	s_mov_b64 exec, s[36:37]                                   // 000000006610: BEFE0124
	s_mov_b64 exec, s[30:31]                                   // 000000006614: BEFE011E
	global_atomic_pk_add_f16 v90, v75, s[8:9] offset:256       // 000000006618: DD388100 00084B5A
	s_mov_b64 exec, s[36:37]                                   // 000000006620: BEFE0124
	s_mov_b64 exec, s[32:33]                                   // 000000006624: BEFE0120
	global_atomic_pk_add_f16 v92, v76, s[8:9]                  // 000000006628: DD388000 00084C5C
	s_mov_b64 exec, s[36:37]                                   // 000000006630: BEFE0124
	s_mov_b64 exec, s[32:33]                                   // 000000006634: BEFE0120
	global_atomic_pk_add_f16 v92, v77, s[8:9] offset:256       // 000000006638: DD388100 00084D5C
	s_mov_b64 exec, s[36:37]                                   // 000000006640: BEFE0124
	s_mov_b64 exec, s[34:35]                                   // 000000006644: BEFE0122
	global_atomic_pk_add_f16 v94, v78, s[8:9]                  // 000000006648: DD388000 00084E5E
	s_mov_b64 exec, s[36:37]                                   // 000000006650: BEFE0124
	s_mov_b64 exec, s[34:35]                                   // 000000006654: BEFE0122
	global_atomic_pk_add_f16 v94, v79, s[8:9] offset:256       // 000000006658: DD388100 00084F5E
	s_mov_b64 exec, s[36:37]                                   // 000000006660: BEFE0124
	s_add_u32 s8, s59, s8                                      // 000000006664: 8008083B
	s_addc_u32 s9, 0, s9                                       // 000000006668: 82090980
	s_addk_i32 s80, 0x100                                      // 00000000666C: B7500100
	s_cmp_lt_i32 s80, s81                                      // 000000006670: BF045150
	s_cbranch_scc0 label_0E1F                                  // 000000006674: BF840001
	s_branch label_0994                                        // 000000006678: BF82FB75

000000000000667c <label_0E1F>:
	s_nop 0                                                    // 00000000667C: BF800000
	s_nop 0                                                    // 000000006680: BF800000
	s_branch label_196D                                        // 000000006684: BF820B4B

0000000000006688 <label_0E22>:
	s_waitcnt vmcnt(16) lgkmcnt(0)                             // 000000006688: BF8C4070
	s_barrier                                                  // 00000000668C: BF8A0000
	v_mfma_i32_16x16x32_i8 v[128:131], a[0:1], v[176:177], v[128:131]// 000000006690: D3D70080 0E036100
	buffer_load_dwordx4 a[96:99], v34, s[24:27], 0 offen       // 000000006698: E05C1000 80866022
	v_mfma_i32_16x16x32_i8 v[128:131], a[2:3], v[178:179], v[128:131]// 0000000066A0: D3D70080 0E036502
	v_mfma_i32_16x16x32_i8 v[128:131], a[4:5], v[180:181], v[128:131]// 0000000066A8: D3D70080 0E036904
	buffer_load_dword v26, s[20:23], 0 offen lds               // 0000000066B0: E0511000 8005001A
	s_add_u32 m0, 0x100, s50                                   // 0000000066B8: 807C32FF 00000100
	v_mfma_i32_16x16x32_i8 v[128:131], a[6:7], v[182:183], v[128:131]// 0000000066C0: D3D70080 0E036D06
	v_mfma_i32_16x16x32_i8 v[128:131], a[8:9], v[184:185], v[128:131]// 0000000066C8: D3D70080 0E037108
	buffer_load_dwordx4 a[100:103], v34, s[24:27], 0 offen offset:1024// 0000000066D0: E05C1400 80866422
	v_mfma_i32_16x16x32_i8 v[128:131], a[10:11], v[186:187], v[128:131]// 0000000066D8: D3D70080 0E03750A
	v_mfma_i32_16x16x32_i8 v[128:131], a[12:13], v[188:189], v[128:131]// 0000000066E0: D3D70080 0E03790C
	buffer_load_dword v27, s[20:23], 0 offen lds               // 0000000066E8: E0511000 8005001B
	s_add_u32 m0, 0x200, s50                                   // 0000000066F0: 807C32FF 00000200
	v_mfma_i32_16x16x32_i8 v[128:131], a[14:15], v[190:191], v[128:131]// 0000000066F8: D3D70080 0E037D0E
	v_mfma_i32_16x16x32_i8 v[132:135], a[0:1], v[192:193], v[132:135]// 000000006700: D3D70084 0E138100
	buffer_load_dwordx4 a[104:107], v34, s[24:27], 0 offen offset:2048// 000000006708: E05C1800 80866822
	v_mfma_i32_16x16x32_i8 v[132:135], a[2:3], v[194:195], v[132:135]// 000000006710: D3D70084 0E138502
	v_mfma_i32_16x16x32_i8 v[132:135], a[4:5], v[196:197], v[132:135]// 000000006718: D3D70084 0E138904
	buffer_load_dword v28, s[20:23], 0 offen lds               // 000000006720: E0511000 8005001C
	s_add_u32 m0, 0x300, s50                                   // 000000006728: 807C32FF 00000300
	v_mfma_i32_16x16x32_i8 v[132:135], a[6:7], v[198:199], v[132:135]// 000000006730: D3D70084 0E138D06
	v_mfma_i32_16x16x32_i8 v[132:135], a[8:9], v[200:201], v[132:135]// 000000006738: D3D70084 0E139108
	buffer_load_dwordx4 a[108:111], v34, s[24:27], 0 offen offset:3072// 000000006740: E05C1C00 80866C22
	v_mfma_i32_16x16x32_i8 v[132:135], a[10:11], v[202:203], v[132:135]// 000000006748: D3D70084 0E13950A
	v_mfma_i32_16x16x32_i8 v[132:135], a[12:13], v[204:205], v[132:135]// 000000006750: D3D70084 0E13990C
	buffer_load_dword v29, s[20:23], 0 offen lds               // 000000006758: E0511000 8005001D
	s_add_u32 m0, 0x400, s50                                   // 000000006760: 807C32FF 00000400
	v_mfma_i32_16x16x32_i8 v[132:135], a[14:15], v[206:207], v[132:135]// 000000006768: D3D70084 0E139D0E
	v_mfma_i32_16x16x32_i8 v[136:139], a[16:17], v[176:177], v[136:139]// 000000006770: D3D70088 0E236110
	buffer_load_dwordx4 a[112:115], v35, s[24:27], 0 offen     // 000000006778: E05C1000 80867023
	v_mfma_i32_16x16x32_i8 v[136:139], a[18:19], v[178:179], v[136:139]// 000000006780: D3D70088 0E236512
	v_mfma_i32_16x16x32_i8 v[136:139], a[20:21], v[180:181], v[136:139]// 000000006788: D3D70088 0E236914
	buffer_load_dword v30, s[20:23], 0 offen lds               // 000000006790: E0511000 8005001E
	s_add_u32 m0, 0x500, s50                                   // 000000006798: 807C32FF 00000500
	v_mfma_i32_16x16x32_i8 v[136:139], a[22:23], v[182:183], v[136:139]// 0000000067A0: D3D70088 0E236D16
	v_mfma_i32_16x16x32_i8 v[136:139], a[24:25], v[184:185], v[136:139]// 0000000067A8: D3D70088 0E237118
	buffer_load_dwordx4 a[116:119], v35, s[24:27], 0 offen offset:1024// 0000000067B0: E05C1400 80867423
	v_mfma_i32_16x16x32_i8 v[136:139], a[26:27], v[186:187], v[136:139]// 0000000067B8: D3D70088 0E23751A
	v_mfma_i32_16x16x32_i8 v[136:139], a[28:29], v[188:189], v[136:139]// 0000000067C0: D3D70088 0E23791C
	buffer_load_dword v31, s[20:23], 0 offen lds               // 0000000067C8: E0511000 8005001F
	s_add_u32 m0, 0x600, s50                                   // 0000000067D0: 807C32FF 00000600
	v_mfma_i32_16x16x32_i8 v[136:139], a[30:31], v[190:191], v[136:139]// 0000000067D8: D3D70088 0E237D1E
	v_mfma_i32_16x16x32_i8 v[140:143], a[16:17], v[192:193], v[140:143]// 0000000067E0: D3D7008C 0E338110
	buffer_load_dwordx4 a[120:123], v35, s[24:27], 0 offen offset:2048// 0000000067E8: E05C1800 80867823
	v_mfma_i32_16x16x32_i8 v[140:143], a[18:19], v[194:195], v[140:143]// 0000000067F0: D3D7008C 0E338512
	v_mfma_i32_16x16x32_i8 v[140:143], a[20:21], v[196:197], v[140:143]// 0000000067F8: D3D7008C 0E338914
	buffer_load_dword v32, s[20:23], 0 offen lds               // 000000006800: E0511000 80050020
	s_add_u32 m0, 0x700, s50                                   // 000000006808: 807C32FF 00000700
	v_mfma_i32_16x16x32_i8 v[140:143], a[22:23], v[198:199], v[140:143]// 000000006810: D3D7008C 0E338D16
	v_mfma_i32_16x16x32_i8 v[140:143], a[24:25], v[200:201], v[140:143]// 000000006818: D3D7008C 0E339118
	buffer_load_dwordx4 a[124:127], v35, s[24:27], 0 offen offset:3072// 000000006820: E05C1C00 80867C23
	v_mfma_i32_16x16x32_i8 v[140:143], a[26:27], v[202:203], v[140:143]// 000000006828: D3D7008C 0E33951A
	v_mfma_i32_16x16x32_i8 v[140:143], a[28:29], v[204:205], v[140:143]// 000000006830: D3D7008C 0E33991C
	buffer_load_dword v33, s[20:23], 0 offen lds               // 000000006838: E0511000 80050021
	s_add_u32 m0, 0, s51                                       // 000000006840: 807C3380
	v_mfma_i32_16x16x32_i8 v[140:143], a[30:31], v[206:207], v[140:143]// 000000006844: D3D7008C 0E339D1E
	s_waitcnt vmcnt(28)                                        // 00000000684C: BF8C4F7C
	v_mfma_i32_16x16x32_i8 v[144:147], a[32:33], v[176:177], v[144:147]// 000000006850: D3D70090 0E436120
	buffer_load_dwordx4 a[128:131], v36, s[24:27], 0 offen     // 000000006858: E05C1000 80868024
	v_mfma_i32_16x16x32_i8 v[144:147], a[34:35], v[178:179], v[144:147]// 000000006860: D3D70090 0E436522
	v_mfma_i32_16x16x32_i8 v[144:147], a[36:37], v[180:181], v[144:147]// 000000006868: D3D70090 0E436924
	ds_read_b128 v[208:211], v2 offset:8320                    // 000000006870: D9FE2080 D0000002
	v_mfma_i32_16x16x32_i8 v[144:147], a[38:39], v[182:183], v[144:147]// 000000006878: D3D70090 0E436D26
	v_mfma_i32_16x16x32_i8 v[144:147], a[40:41], v[184:185], v[144:147]// 000000006880: D3D70090 0E437128
	buffer_load_dwordx4 a[132:135], v36, s[24:27], 0 offen offset:1024// 000000006888: E05C1400 80868424
	v_mfma_i32_16x16x32_i8 v[144:147], a[42:43], v[186:187], v[144:147]// 000000006890: D3D70090 0E43752A
	v_mfma_i32_16x16x32_i8 v[144:147], a[44:45], v[188:189], v[144:147]// 000000006898: D3D70090 0E43792C
	ds_read_b128 v[212:215], v2 offset:8384                    // 0000000068A0: D9FE20C0 D4000002
	v_mfma_i32_16x16x32_i8 v[144:147], a[46:47], v[190:191], v[144:147]// 0000000068A8: D3D70090 0E437D2E
	v_mfma_i32_16x16x32_i8 v[148:151], a[32:33], v[192:193], v[148:151]// 0000000068B0: D3D70094 0E538120
	buffer_load_dwordx4 a[136:139], v36, s[24:27], 0 offen offset:2048// 0000000068B8: E05C1800 80868824
	v_mfma_i32_16x16x32_i8 v[148:151], a[34:35], v[194:195], v[148:151]// 0000000068C0: D3D70094 0E538522
	v_mfma_i32_16x16x32_i8 v[148:151], a[36:37], v[196:197], v[148:151]// 0000000068C8: D3D70094 0E538924
	ds_read_b128 v[216:219], v2 offset:8448                    // 0000000068D0: D9FE2100 D8000002
	v_mfma_i32_16x16x32_i8 v[148:151], a[38:39], v[198:199], v[148:151]// 0000000068D8: D3D70094 0E538D26
	v_mfma_i32_16x16x32_i8 v[148:151], a[40:41], v[200:201], v[148:151]// 0000000068E0: D3D70094 0E539128
	buffer_load_dwordx4 a[140:143], v36, s[24:27], 0 offen offset:3072// 0000000068E8: E05C1C00 80868C24
	v_mfma_i32_16x16x32_i8 v[148:151], a[42:43], v[202:203], v[148:151]// 0000000068F0: D3D70094 0E53952A
	v_mfma_i32_16x16x32_i8 v[148:151], a[44:45], v[204:205], v[148:151]// 0000000068F8: D3D70094 0E53992C
	ds_read_b128 v[220:223], v2 offset:8512                    // 000000006900: D9FE2140 DC000002
	v_mfma_i32_16x16x32_i8 v[148:151], a[46:47], v[206:207], v[148:151]// 000000006908: D3D70094 0E539D2E
	s_waitcnt vmcnt(28)                                        // 000000006910: BF8C4F7C
	v_mfma_i32_16x16x32_i8 v[152:155], a[48:49], v[176:177], v[152:155]// 000000006914: D3D70098 0E636130
	buffer_load_dwordx4 a[144:147], v37, s[24:27], 0 offen     // 00000000691C: E05C1000 80869025
	v_mfma_i32_16x16x32_i8 v[152:155], a[50:51], v[178:179], v[152:155]// 000000006924: D3D70098 0E636532
	v_mfma_i32_16x16x32_i8 v[152:155], a[52:53], v[180:181], v[152:155]// 00000000692C: D3D70098 0E636934
	ds_read_b128 v[224:227], v2 offset:9344                    // 000000006934: D9FE2480 E0000002
	v_mfma_i32_16x16x32_i8 v[152:155], a[54:55], v[182:183], v[152:155]// 00000000693C: D3D70098 0E636D36
	v_mfma_i32_16x16x32_i8 v[152:155], a[56:57], v[184:185], v[152:155]// 000000006944: D3D70098 0E637138
	buffer_load_dwordx4 a[148:151], v37, s[24:27], 0 offen offset:1024// 00000000694C: E05C1400 80869425
	v_mfma_i32_16x16x32_i8 v[152:155], a[58:59], v[186:187], v[152:155]// 000000006954: D3D70098 0E63753A
	v_mfma_i32_16x16x32_i8 v[152:155], a[60:61], v[188:189], v[152:155]// 00000000695C: D3D70098 0E63793C
	ds_read_b128 v[228:231], v2 offset:9408                    // 000000006964: D9FE24C0 E4000002
	v_mfma_i32_16x16x32_i8 v[152:155], a[62:63], v[190:191], v[152:155]// 00000000696C: D3D70098 0E637D3E
	v_mfma_i32_16x16x32_i8 v[156:159], a[48:49], v[192:193], v[156:159]// 000000006974: D3D7009C 0E738130
	buffer_load_dwordx4 a[152:155], v37, s[24:27], 0 offen offset:2048// 00000000697C: E05C1800 80869825
	v_mfma_i32_16x16x32_i8 v[156:159], a[50:51], v[194:195], v[156:159]// 000000006984: D3D7009C 0E738532
	v_mfma_i32_16x16x32_i8 v[156:159], a[52:53], v[196:197], v[156:159]// 00000000698C: D3D7009C 0E738934
	ds_read_b128 v[232:235], v2 offset:9472                    // 000000006994: D9FE2500 E8000002
	v_mfma_i32_16x16x32_i8 v[156:159], a[54:55], v[198:199], v[156:159]// 00000000699C: D3D7009C 0E738D36
	v_mfma_i32_16x16x32_i8 v[156:159], a[56:57], v[200:201], v[156:159]// 0000000069A4: D3D7009C 0E739138
	buffer_load_dwordx4 a[156:159], v37, s[24:27], 0 offen offset:3072// 0000000069AC: E05C1C00 80869C25
	v_mfma_i32_16x16x32_i8 v[156:159], a[58:59], v[202:203], v[156:159]// 0000000069B4: D3D7009C 0E73953A
	v_mfma_i32_16x16x32_i8 v[156:159], a[60:61], v[204:205], v[156:159]// 0000000069BC: D3D7009C 0E73993C
	ds_read_b128 v[236:239], v2 offset:9536                    // 0000000069C4: D9FE2540 EC000002
	v_mfma_i32_16x16x32_i8 v[156:159], a[62:63], v[206:207], v[156:159]// 0000000069CC: D3D7009C 0E739D3E
	s_waitcnt vmcnt(28)                                        // 0000000069D4: BF8C4F7C
	v_mfma_i32_16x16x32_i8 v[160:163], a[64:65], v[176:177], v[160:163]// 0000000069D8: D3D700A0 0E836140
	buffer_load_dwordx4 a[160:163], v38, s[24:27], 0 offen     // 0000000069E0: E05C1000 8086A026
	v_mfma_i32_16x16x32_i8 v[160:163], a[66:67], v[178:179], v[160:163]// 0000000069E8: D3D700A0 0E836542
	v_mfma_i32_16x16x32_i8 v[160:163], a[68:69], v[180:181], v[160:163]// 0000000069F0: D3D700A0 0E836944
	v_mfma_i32_16x16x32_i8 v[160:163], a[70:71], v[182:183], v[160:163]// 0000000069F8: D3D700A0 0E836D46
	v_mfma_i32_16x16x32_i8 v[160:163], a[72:73], v[184:185], v[160:163]// 000000006A00: D3D700A0 0E837148
	buffer_load_dwordx4 a[164:167], v38, s[24:27], 0 offen offset:1024// 000000006A08: E05C1400 8086A426
	v_mfma_i32_16x16x32_i8 v[160:163], a[74:75], v[186:187], v[160:163]// 000000006A10: D3D700A0 0E83754A
	v_mfma_i32_16x16x32_i8 v[160:163], a[76:77], v[188:189], v[160:163]// 000000006A18: D3D700A0 0E83794C
	v_mfma_i32_16x16x32_i8 v[160:163], a[78:79], v[190:191], v[160:163]// 000000006A20: D3D700A0 0E837D4E
	v_mfma_i32_16x16x32_i8 v[164:167], a[64:65], v[192:193], v[164:167]// 000000006A28: D3D700A4 0E938140
	buffer_load_dwordx4 a[168:171], v38, s[24:27], 0 offen offset:2048// 000000006A30: E05C1800 8086A826
	v_mfma_i32_16x16x32_i8 v[164:167], a[66:67], v[194:195], v[164:167]// 000000006A38: D3D700A4 0E938542
	v_mfma_i32_16x16x32_i8 v[164:167], a[68:69], v[196:197], v[164:167]// 000000006A40: D3D700A4 0E938944
	v_mfma_i32_16x16x32_i8 v[164:167], a[70:71], v[198:199], v[164:167]// 000000006A48: D3D700A4 0E938D46
	v_mfma_i32_16x16x32_i8 v[164:167], a[72:73], v[200:201], v[164:167]// 000000006A50: D3D700A4 0E939148
	buffer_load_dwordx4 a[172:175], v38, s[24:27], 0 offen offset:3072// 000000006A58: E05C1C00 8086AC26
	v_mfma_i32_16x16x32_i8 v[164:167], a[74:75], v[202:203], v[164:167]// 000000006A60: D3D700A4 0E93954A
	v_mfma_i32_16x16x32_i8 v[164:167], a[76:77], v[204:205], v[164:167]// 000000006A68: D3D700A4 0E93994C
	v_mfma_i32_16x16x32_i8 v[164:167], a[78:79], v[206:207], v[164:167]// 000000006A70: D3D700A4 0E939D4E
	s_waitcnt vmcnt(28)                                        // 000000006A78: BF8C4F7C
	v_mfma_i32_16x16x32_i8 v[168:171], a[80:81], v[176:177], v[168:171]// 000000006A7C: D3D700A8 0EA36150
	buffer_load_dwordx4 a[176:179], v39, s[24:27], 0 offen     // 000000006A84: E05C1000 8086B027
	v_mfma_i32_16x16x32_i8 v[168:171], a[82:83], v[178:179], v[168:171]// 000000006A8C: D3D700A8 0EA36552
	v_mfma_i32_16x16x32_i8 v[168:171], a[84:85], v[180:181], v[168:171]// 000000006A94: D3D700A8 0EA36954
	v_mfma_i32_16x16x32_i8 v[168:171], a[86:87], v[182:183], v[168:171]// 000000006A9C: D3D700A8 0EA36D56
	v_mfma_i32_16x16x32_i8 v[168:171], a[88:89], v[184:185], v[168:171]// 000000006AA4: D3D700A8 0EA37158
	buffer_load_dwordx4 a[180:183], v39, s[24:27], 0 offen offset:1024// 000000006AAC: E05C1400 8086B427
	v_mfma_i32_16x16x32_i8 v[168:171], a[90:91], v[186:187], v[168:171]// 000000006AB4: D3D700A8 0EA3755A
	v_mfma_i32_16x16x32_i8 v[168:171], a[92:93], v[188:189], v[168:171]// 000000006ABC: D3D700A8 0EA3795C
	v_mfma_i32_16x16x32_i8 v[168:171], a[94:95], v[190:191], v[168:171]// 000000006AC4: D3D700A8 0EA37D5E
	v_mfma_i32_16x16x32_i8 v[172:175], a[80:81], v[192:193], v[172:175]// 000000006ACC: D3D700AC 0EB38150
	buffer_load_dwordx4 a[184:187], v39, s[24:27], 0 offen offset:2048// 000000006AD4: E05C1800 8086B827
	v_mfma_i32_16x16x32_i8 v[172:175], a[82:83], v[194:195], v[172:175]// 000000006ADC: D3D700AC 0EB38552
	v_mfma_i32_16x16x32_i8 v[172:175], a[84:85], v[196:197], v[172:175]// 000000006AE4: D3D700AC 0EB38954
	v_mfma_i32_16x16x32_i8 v[172:175], a[86:87], v[198:199], v[172:175]// 000000006AEC: D3D700AC 0EB38D56
	v_mfma_i32_16x16x32_i8 v[172:175], a[88:89], v[200:201], v[172:175]// 000000006AF4: D3D700AC 0EB39158
	buffer_load_dwordx4 a[188:191], v39, s[24:27], 0 offen offset:3072// 000000006AFC: E05C1C00 8086BC27
	v_mfma_i32_16x16x32_i8 v[172:175], a[90:91], v[202:203], v[172:175]// 000000006B04: D3D700AC 0EB3955A
	v_mfma_i32_16x16x32_i8 v[172:175], a[92:93], v[204:205], v[172:175]// 000000006B0C: D3D700AC 0EB3995C
	v_mfma_i32_16x16x32_i8 v[172:175], a[94:95], v[206:207], v[172:175]// 000000006B14: D3D700AC 0EB39D5E
	s_add_u32 s60, 0x300, s80                                  // 000000006B1C: 803C50FF 00000300
	s_cmp_lt_u32 s60, s81                                      // 000000006B24: BF0A513C
	s_cselect_b32 s57, s57, 0                                  // 000000006B28: 85398039
	s_add_u32 s60, 0x200, s80                                  // 000000006B2C: 803C50FF 00000200
	s_cmp_lt_u32 s60, s81                                      // 000000006B34: BF0A513C
	s_cselect_b32 s58, s58, 0                                  // 000000006B38: 853A803A
	s_add_u32 s20, s57, s20                                    // 000000006B3C: 80141439
	s_addc_u32 s21, 0, s21                                     // 000000006B40: 82151580
	s_add_u32 s24, s58, s24                                    // 000000006B44: 8018183A
	s_addc_u32 s25, 0, s25                                     // 000000006B48: 82191980
	s_addk_i32 s80, 0x100                                      // 000000006B4C: B7500100
	s_cmp_lt_i32 s80, s81                                      // 000000006B50: BF045150
	s_cbranch_scc0 label_108B                                  // 000000006B54: BF840135
	s_waitcnt vmcnt(16) lgkmcnt(0)                             // 000000006B58: BF8C4070
	s_barrier                                                  // 000000006B5C: BF8A0000
	v_mfma_i32_16x16x32_i8 v[128:131], a[96:97], v[208:209], v[128:131]// 000000006B60: D3D70080 0E03A160
	buffer_load_dwordx4 a[0:3], v34, s[24:27], 0 offen         // 000000006B68: E05C1000 80860022
	v_mfma_i32_16x16x32_i8 v[128:131], a[98:99], v[210:211], v[128:131]// 000000006B70: D3D70080 0E03A562
	v_mfma_i32_16x16x32_i8 v[128:131], a[100:101], v[212:213], v[128:131]// 000000006B78: D3D70080 0E03A964
	buffer_load_dword v26, s[20:23], 0 offen lds               // 000000006B80: E0511000 8005001A
	s_add_u32 m0, 0x100, s51                                   // 000000006B88: 807C33FF 00000100
	v_mfma_i32_16x16x32_i8 v[128:131], a[102:103], v[214:215], v[128:131]// 000000006B90: D3D70080 0E03AD66
	v_mfma_i32_16x16x32_i8 v[128:131], a[104:105], v[216:217], v[128:131]// 000000006B98: D3D70080 0E03B168
	buffer_load_dwordx4 a[4:7], v34, s[24:27], 0 offen offset:1024// 000000006BA0: E05C1400 80860422
	v_mfma_i32_16x16x32_i8 v[128:131], a[106:107], v[218:219], v[128:131]// 000000006BA8: D3D70080 0E03B56A
	v_mfma_i32_16x16x32_i8 v[128:131], a[108:109], v[220:221], v[128:131]// 000000006BB0: D3D70080 0E03B96C
	buffer_load_dword v27, s[20:23], 0 offen lds               // 000000006BB8: E0511000 8005001B
	s_add_u32 m0, 0x200, s51                                   // 000000006BC0: 807C33FF 00000200
	v_mfma_i32_16x16x32_i8 v[128:131], a[110:111], v[222:223], v[128:131]// 000000006BC8: D3D70080 0E03BD6E
	v_mfma_i32_16x16x32_i8 v[132:135], a[96:97], v[224:225], v[132:135]// 000000006BD0: D3D70084 0E13C160
	buffer_load_dwordx4 a[8:11], v34, s[24:27], 0 offen offset:2048// 000000006BD8: E05C1800 80860822
	v_mfma_i32_16x16x32_i8 v[132:135], a[98:99], v[226:227], v[132:135]// 000000006BE0: D3D70084 0E13C562
	v_mfma_i32_16x16x32_i8 v[132:135], a[100:101], v[228:229], v[132:135]// 000000006BE8: D3D70084 0E13C964
	buffer_load_dword v28, s[20:23], 0 offen lds               // 000000006BF0: E0511000 8005001C
	s_add_u32 m0, 0x300, s51                                   // 000000006BF8: 807C33FF 00000300
	v_mfma_i32_16x16x32_i8 v[132:135], a[102:103], v[230:231], v[132:135]// 000000006C00: D3D70084 0E13CD66
	v_mfma_i32_16x16x32_i8 v[132:135], a[104:105], v[232:233], v[132:135]// 000000006C08: D3D70084 0E13D168
	buffer_load_dwordx4 a[12:15], v34, s[24:27], 0 offen offset:3072// 000000006C10: E05C1C00 80860C22
	v_mfma_i32_16x16x32_i8 v[132:135], a[106:107], v[234:235], v[132:135]// 000000006C18: D3D70084 0E13D56A
	v_mfma_i32_16x16x32_i8 v[132:135], a[108:109], v[236:237], v[132:135]// 000000006C20: D3D70084 0E13D96C
	buffer_load_dword v29, s[20:23], 0 offen lds               // 000000006C28: E0511000 8005001D
	s_add_u32 m0, 0x400, s51                                   // 000000006C30: 807C33FF 00000400
	v_mfma_i32_16x16x32_i8 v[132:135], a[110:111], v[238:239], v[132:135]// 000000006C38: D3D70084 0E13DD6E
	v_mfma_i32_16x16x32_i8 v[136:139], a[112:113], v[208:209], v[136:139]// 000000006C40: D3D70088 0E23A170
	buffer_load_dwordx4 a[16:19], v35, s[24:27], 0 offen       // 000000006C48: E05C1000 80861023
	v_mfma_i32_16x16x32_i8 v[136:139], a[114:115], v[210:211], v[136:139]// 000000006C50: D3D70088 0E23A572
	v_mfma_i32_16x16x32_i8 v[136:139], a[116:117], v[212:213], v[136:139]// 000000006C58: D3D70088 0E23A974
	buffer_load_dword v30, s[20:23], 0 offen lds               // 000000006C60: E0511000 8005001E
	s_add_u32 m0, 0x500, s51                                   // 000000006C68: 807C33FF 00000500
	v_mfma_i32_16x16x32_i8 v[136:139], a[118:119], v[214:215], v[136:139]// 000000006C70: D3D70088 0E23AD76
	v_mfma_i32_16x16x32_i8 v[136:139], a[120:121], v[216:217], v[136:139]// 000000006C78: D3D70088 0E23B178
	buffer_load_dwordx4 a[20:23], v35, s[24:27], 0 offen offset:1024// 000000006C80: E05C1400 80861423
	v_mfma_i32_16x16x32_i8 v[136:139], a[122:123], v[218:219], v[136:139]// 000000006C88: D3D70088 0E23B57A
	v_mfma_i32_16x16x32_i8 v[136:139], a[124:125], v[220:221], v[136:139]// 000000006C90: D3D70088 0E23B97C
	buffer_load_dword v31, s[20:23], 0 offen lds               // 000000006C98: E0511000 8005001F
	s_add_u32 m0, 0x600, s51                                   // 000000006CA0: 807C33FF 00000600
	v_mfma_i32_16x16x32_i8 v[136:139], a[126:127], v[222:223], v[136:139]// 000000006CA8: D3D70088 0E23BD7E
	v_mfma_i32_16x16x32_i8 v[140:143], a[112:113], v[224:225], v[140:143]// 000000006CB0: D3D7008C 0E33C170
	buffer_load_dwordx4 a[24:27], v35, s[24:27], 0 offen offset:2048// 000000006CB8: E05C1800 80861823
	v_mfma_i32_16x16x32_i8 v[140:143], a[114:115], v[226:227], v[140:143]// 000000006CC0: D3D7008C 0E33C572
	v_mfma_i32_16x16x32_i8 v[140:143], a[116:117], v[228:229], v[140:143]// 000000006CC8: D3D7008C 0E33C974
	buffer_load_dword v32, s[20:23], 0 offen lds               // 000000006CD0: E0511000 80050020
	s_add_u32 m0, 0x700, s51                                   // 000000006CD8: 807C33FF 00000700
	v_mfma_i32_16x16x32_i8 v[140:143], a[118:119], v[230:231], v[140:143]// 000000006CE0: D3D7008C 0E33CD76
	v_mfma_i32_16x16x32_i8 v[140:143], a[120:121], v[232:233], v[140:143]// 000000006CE8: D3D7008C 0E33D178
	buffer_load_dwordx4 a[28:31], v35, s[24:27], 0 offen offset:3072// 000000006CF0: E05C1C00 80861C23
	v_mfma_i32_16x16x32_i8 v[140:143], a[122:123], v[234:235], v[140:143]// 000000006CF8: D3D7008C 0E33D57A
	v_mfma_i32_16x16x32_i8 v[140:143], a[124:125], v[236:237], v[140:143]// 000000006D00: D3D7008C 0E33D97C
	buffer_load_dword v33, s[20:23], 0 offen lds               // 000000006D08: E0511000 80050021
	s_add_u32 m0, 0, s50                                       // 000000006D10: 807C3280
	v_mfma_i32_16x16x32_i8 v[140:143], a[126:127], v[238:239], v[140:143]// 000000006D14: D3D7008C 0E33DD7E
	s_waitcnt vmcnt(28)                                        // 000000006D1C: BF8C4F7C
	v_mfma_i32_16x16x32_i8 v[144:147], a[128:129], v[208:209], v[144:147]// 000000006D20: D3D70090 0E43A180
	buffer_load_dwordx4 a[32:35], v36, s[24:27], 0 offen       // 000000006D28: E05C1000 80862024
	v_mfma_i32_16x16x32_i8 v[144:147], a[130:131], v[210:211], v[144:147]// 000000006D30: D3D70090 0E43A582
	v_mfma_i32_16x16x32_i8 v[144:147], a[132:133], v[212:213], v[144:147]// 000000006D38: D3D70090 0E43A984
	ds_read_b128 v[176:179], v2                                // 000000006D40: D9FE0000 B0000002
	v_mfma_i32_16x16x32_i8 v[144:147], a[134:135], v[214:215], v[144:147]// 000000006D48: D3D70090 0E43AD86
	v_mfma_i32_16x16x32_i8 v[144:147], a[136:137], v[216:217], v[144:147]// 000000006D50: D3D70090 0E43B188
	buffer_load_dwordx4 a[36:39], v36, s[24:27], 0 offen offset:1024// 000000006D58: E05C1400 80862424
	v_mfma_i32_16x16x32_i8 v[144:147], a[138:139], v[218:219], v[144:147]// 000000006D60: D3D70090 0E43B58A
	v_mfma_i32_16x16x32_i8 v[144:147], a[140:141], v[220:221], v[144:147]// 000000006D68: D3D70090 0E43B98C
	ds_read_b128 v[180:183], v2 offset:64                      // 000000006D70: D9FE0040 B4000002
	v_mfma_i32_16x16x32_i8 v[144:147], a[142:143], v[222:223], v[144:147]// 000000006D78: D3D70090 0E43BD8E
	v_mfma_i32_16x16x32_i8 v[148:151], a[128:129], v[224:225], v[148:151]// 000000006D80: D3D70094 0E53C180
	buffer_load_dwordx4 a[40:43], v36, s[24:27], 0 offen offset:2048// 000000006D88: E05C1800 80862824
	v_mfma_i32_16x16x32_i8 v[148:151], a[130:131], v[226:227], v[148:151]// 000000006D90: D3D70094 0E53C582
	v_mfma_i32_16x16x32_i8 v[148:151], a[132:133], v[228:229], v[148:151]// 000000006D98: D3D70094 0E53C984
	ds_read_b128 v[184:187], v2 offset:128                     // 000000006DA0: D9FE0080 B8000002
	v_mfma_i32_16x16x32_i8 v[148:151], a[134:135], v[230:231], v[148:151]// 000000006DA8: D3D70094 0E53CD86
	v_mfma_i32_16x16x32_i8 v[148:151], a[136:137], v[232:233], v[148:151]// 000000006DB0: D3D70094 0E53D188
	buffer_load_dwordx4 a[44:47], v36, s[24:27], 0 offen offset:3072// 000000006DB8: E05C1C00 80862C24
	v_mfma_i32_16x16x32_i8 v[148:151], a[138:139], v[234:235], v[148:151]// 000000006DC0: D3D70094 0E53D58A
	v_mfma_i32_16x16x32_i8 v[148:151], a[140:141], v[236:237], v[148:151]// 000000006DC8: D3D70094 0E53D98C
	ds_read_b128 v[188:191], v2 offset:192                     // 000000006DD0: D9FE00C0 BC000002
	v_mfma_i32_16x16x32_i8 v[148:151], a[142:143], v[238:239], v[148:151]// 000000006DD8: D3D70094 0E53DD8E
	s_waitcnt vmcnt(28)                                        // 000000006DE0: BF8C4F7C
	v_mfma_i32_16x16x32_i8 v[152:155], a[144:145], v[208:209], v[152:155]// 000000006DE4: D3D70098 0E63A190
	buffer_load_dwordx4 a[48:51], v37, s[24:27], 0 offen       // 000000006DEC: E05C1000 80863025
	v_mfma_i32_16x16x32_i8 v[152:155], a[146:147], v[210:211], v[152:155]// 000000006DF4: D3D70098 0E63A592
	v_mfma_i32_16x16x32_i8 v[152:155], a[148:149], v[212:213], v[152:155]// 000000006DFC: D3D70098 0E63A994
	ds_read_b128 v[192:195], v2 offset:1024                    // 000000006E04: D9FE0400 C0000002
	v_mfma_i32_16x16x32_i8 v[152:155], a[150:151], v[214:215], v[152:155]// 000000006E0C: D3D70098 0E63AD96
	v_mfma_i32_16x16x32_i8 v[152:155], a[152:153], v[216:217], v[152:155]// 000000006E14: D3D70098 0E63B198
	buffer_load_dwordx4 a[52:55], v37, s[24:27], 0 offen offset:1024// 000000006E1C: E05C1400 80863425
	v_mfma_i32_16x16x32_i8 v[152:155], a[154:155], v[218:219], v[152:155]// 000000006E24: D3D70098 0E63B59A
	v_mfma_i32_16x16x32_i8 v[152:155], a[156:157], v[220:221], v[152:155]// 000000006E2C: D3D70098 0E63B99C
	ds_read_b128 v[196:199], v2 offset:1088                    // 000000006E34: D9FE0440 C4000002
	v_mfma_i32_16x16x32_i8 v[152:155], a[158:159], v[222:223], v[152:155]// 000000006E3C: D3D70098 0E63BD9E
	v_mfma_i32_16x16x32_i8 v[156:159], a[144:145], v[224:225], v[156:159]// 000000006E44: D3D7009C 0E73C190
	buffer_load_dwordx4 a[56:59], v37, s[24:27], 0 offen offset:2048// 000000006E4C: E05C1800 80863825
	v_mfma_i32_16x16x32_i8 v[156:159], a[146:147], v[226:227], v[156:159]// 000000006E54: D3D7009C 0E73C592
	v_mfma_i32_16x16x32_i8 v[156:159], a[148:149], v[228:229], v[156:159]// 000000006E5C: D3D7009C 0E73C994
	ds_read_b128 v[200:203], v2 offset:1152                    // 000000006E64: D9FE0480 C8000002
	v_mfma_i32_16x16x32_i8 v[156:159], a[150:151], v[230:231], v[156:159]// 000000006E6C: D3D7009C 0E73CD96
	v_mfma_i32_16x16x32_i8 v[156:159], a[152:153], v[232:233], v[156:159]// 000000006E74: D3D7009C 0E73D198
	buffer_load_dwordx4 a[60:63], v37, s[24:27], 0 offen offset:3072// 000000006E7C: E05C1C00 80863C25
	v_mfma_i32_16x16x32_i8 v[156:159], a[154:155], v[234:235], v[156:159]// 000000006E84: D3D7009C 0E73D59A
	v_mfma_i32_16x16x32_i8 v[156:159], a[156:157], v[236:237], v[156:159]// 000000006E8C: D3D7009C 0E73D99C
	ds_read_b128 v[204:207], v2 offset:1216                    // 000000006E94: D9FE04C0 CC000002
	v_mfma_i32_16x16x32_i8 v[156:159], a[158:159], v[238:239], v[156:159]// 000000006E9C: D3D7009C 0E73DD9E
	s_waitcnt vmcnt(28)                                        // 000000006EA4: BF8C4F7C
	v_mfma_i32_16x16x32_i8 v[160:163], a[160:161], v[208:209], v[160:163]// 000000006EA8: D3D700A0 0E83A1A0
	buffer_load_dwordx4 a[64:67], v38, s[24:27], 0 offen       // 000000006EB0: E05C1000 80864026
	v_mfma_i32_16x16x32_i8 v[160:163], a[162:163], v[210:211], v[160:163]// 000000006EB8: D3D700A0 0E83A5A2
	v_mfma_i32_16x16x32_i8 v[160:163], a[164:165], v[212:213], v[160:163]// 000000006EC0: D3D700A0 0E83A9A4
	v_mfma_i32_16x16x32_i8 v[160:163], a[166:167], v[214:215], v[160:163]// 000000006EC8: D3D700A0 0E83ADA6
	v_mfma_i32_16x16x32_i8 v[160:163], a[168:169], v[216:217], v[160:163]// 000000006ED0: D3D700A0 0E83B1A8
	buffer_load_dwordx4 a[68:71], v38, s[24:27], 0 offen offset:1024// 000000006ED8: E05C1400 80864426
	v_mfma_i32_16x16x32_i8 v[160:163], a[170:171], v[218:219], v[160:163]// 000000006EE0: D3D700A0 0E83B5AA
	v_mfma_i32_16x16x32_i8 v[160:163], a[172:173], v[220:221], v[160:163]// 000000006EE8: D3D700A0 0E83B9AC
	v_mfma_i32_16x16x32_i8 v[160:163], a[174:175], v[222:223], v[160:163]// 000000006EF0: D3D700A0 0E83BDAE
	v_mfma_i32_16x16x32_i8 v[164:167], a[160:161], v[224:225], v[164:167]// 000000006EF8: D3D700A4 0E93C1A0
	buffer_load_dwordx4 a[72:75], v38, s[24:27], 0 offen offset:2048// 000000006F00: E05C1800 80864826
	v_mfma_i32_16x16x32_i8 v[164:167], a[162:163], v[226:227], v[164:167]// 000000006F08: D3D700A4 0E93C5A2
	v_mfma_i32_16x16x32_i8 v[164:167], a[164:165], v[228:229], v[164:167]// 000000006F10: D3D700A4 0E93C9A4
	v_mfma_i32_16x16x32_i8 v[164:167], a[166:167], v[230:231], v[164:167]// 000000006F18: D3D700A4 0E93CDA6
	v_mfma_i32_16x16x32_i8 v[164:167], a[168:169], v[232:233], v[164:167]// 000000006F20: D3D700A4 0E93D1A8
	buffer_load_dwordx4 a[76:79], v38, s[24:27], 0 offen offset:3072// 000000006F28: E05C1C00 80864C26
	v_mfma_i32_16x16x32_i8 v[164:167], a[170:171], v[234:235], v[164:167]// 000000006F30: D3D700A4 0E93D5AA
	v_mfma_i32_16x16x32_i8 v[164:167], a[172:173], v[236:237], v[164:167]// 000000006F38: D3D700A4 0E93D9AC
	v_mfma_i32_16x16x32_i8 v[164:167], a[174:175], v[238:239], v[164:167]// 000000006F40: D3D700A4 0E93DDAE
	s_waitcnt vmcnt(28)                                        // 000000006F48: BF8C4F7C
	v_mfma_i32_16x16x32_i8 v[168:171], a[176:177], v[208:209], v[168:171]// 000000006F4C: D3D700A8 0EA3A1B0
	buffer_load_dwordx4 a[80:83], v39, s[24:27], 0 offen       // 000000006F54: E05C1000 80865027
	v_mfma_i32_16x16x32_i8 v[168:171], a[178:179], v[210:211], v[168:171]// 000000006F5C: D3D700A8 0EA3A5B2
	v_mfma_i32_16x16x32_i8 v[168:171], a[180:181], v[212:213], v[168:171]// 000000006F64: D3D700A8 0EA3A9B4
	v_mfma_i32_16x16x32_i8 v[168:171], a[182:183], v[214:215], v[168:171]// 000000006F6C: D3D700A8 0EA3ADB6
	v_mfma_i32_16x16x32_i8 v[168:171], a[184:185], v[216:217], v[168:171]// 000000006F74: D3D700A8 0EA3B1B8
	buffer_load_dwordx4 a[84:87], v39, s[24:27], 0 offen offset:1024// 000000006F7C: E05C1400 80865427
	v_mfma_i32_16x16x32_i8 v[168:171], a[186:187], v[218:219], v[168:171]// 000000006F84: D3D700A8 0EA3B5BA
	v_mfma_i32_16x16x32_i8 v[168:171], a[188:189], v[220:221], v[168:171]// 000000006F8C: D3D700A8 0EA3B9BC
	v_mfma_i32_16x16x32_i8 v[168:171], a[190:191], v[222:223], v[168:171]// 000000006F94: D3D700A8 0EA3BDBE
	v_mfma_i32_16x16x32_i8 v[172:175], a[176:177], v[224:225], v[172:175]// 000000006F9C: D3D700AC 0EB3C1B0
	buffer_load_dwordx4 a[88:91], v39, s[24:27], 0 offen offset:2048// 000000006FA4: E05C1800 80865827
	v_mfma_i32_16x16x32_i8 v[172:175], a[178:179], v[226:227], v[172:175]// 000000006FAC: D3D700AC 0EB3C5B2
	v_mfma_i32_16x16x32_i8 v[172:175], a[180:181], v[228:229], v[172:175]// 000000006FB4: D3D700AC 0EB3C9B4
	v_mfma_i32_16x16x32_i8 v[172:175], a[182:183], v[230:231], v[172:175]// 000000006FBC: D3D700AC 0EB3CDB6
	v_mfma_i32_16x16x32_i8 v[172:175], a[184:185], v[232:233], v[172:175]// 000000006FC4: D3D700AC 0EB3D1B8
	buffer_load_dwordx4 a[92:95], v39, s[24:27], 0 offen offset:3072// 000000006FCC: E05C1C00 80865C27
	v_mfma_i32_16x16x32_i8 v[172:175], a[186:187], v[234:235], v[172:175]// 000000006FD4: D3D700AC 0EB3D5BA
	v_mfma_i32_16x16x32_i8 v[172:175], a[188:189], v[236:237], v[172:175]// 000000006FDC: D3D700AC 0EB3D9BC
	v_mfma_i32_16x16x32_i8 v[172:175], a[190:191], v[238:239], v[172:175]// 000000006FE4: D3D700AC 0EB3DDBE
	s_add_u32 s60, 0x300, s80                                  // 000000006FEC: 803C50FF 00000300
	s_cmp_lt_u32 s60, s81                                      // 000000006FF4: BF0A513C
	s_cselect_b32 s57, s57, 0                                  // 000000006FF8: 85398039
	s_add_u32 s60, 0x200, s80                                  // 000000006FFC: 803C50FF 00000200
	s_cmp_lt_u32 s60, s81                                      // 000000007004: BF0A513C
	s_cselect_b32 s58, s58, 0                                  // 000000007008: 853A803A
	s_add_u32 s20, s57, s20                                    // 00000000700C: 80141439
	s_addc_u32 s21, 0, s21                                     // 000000007010: 82151580
	s_add_u32 s24, s58, s24                                    // 000000007014: 8018183A
	s_addc_u32 s25, 0, s25                                     // 000000007018: 82191980
	s_addk_i32 s80, 0x100                                      // 00000000701C: B7500100
	s_cmp_lt_i32 s80, s81                                      // 000000007020: BF045150
	s_cbranch_scc0 label_108B                                  // 000000007024: BF840001
	s_branch label_0E22                                        // 000000007028: BF82FD97

000000000000702c <label_108B>:
	s_mov_b32 s36, -1                                          // 00000000702C: BEA400C1
	s_mov_b32 s37, -1                                          // 000000007030: BEA500C1
	s_mov_b64 s[60:61], 0                                      // 000000007034: BEBC0180
	s_cmp_lt_u32 s82, s66                                      // 000000007038: BF0A4252
	s_cselect_b64 s[20:21], s[36:37], s[60:61]                 // 00000000703C: 85943C24
	s_cmp_lt_u32 s83, s66                                      // 000000007040: BF0A4253
	s_cselect_b64 s[22:23], s[36:37], s[60:61]                 // 000000007044: 85963C24
	s_cmp_lt_u32 s84, s66                                      // 000000007048: BF0A4254
	s_cselect_b64 s[24:25], s[36:37], s[60:61]                 // 00000000704C: 85983C24
	s_cmp_lt_u32 s85, s66                                      // 000000007050: BF0A4255
	s_cselect_b64 s[26:27], s[36:37], s[60:61]                 // 000000007054: 859A3C24
	s_cmp_lt_u32 s86, s66                                      // 000000007058: BF0A4256
	s_cselect_b64 s[28:29], s[36:37], s[60:61]                 // 00000000705C: 859C3C24
	s_cmp_lt_u32 s87, s66                                      // 000000007060: BF0A4257
	s_cselect_b64 s[30:31], s[36:37], s[60:61]                 // 000000007064: 859E3C24
	s_cmp_lt_u32 s88, s66                                      // 000000007068: BF0A4258
	s_cselect_b64 s[32:33], s[36:37], s[60:61]                 // 00000000706C: 85A03C24
	s_cmp_lt_u32 s89, s66                                      // 000000007070: BF0A4259
	s_cselect_b64 s[34:35], s[36:37], s[60:61]                 // 000000007074: 85A23C24
	v_cvt_f32_i32_e32 v128, v128                               // 000000007078: 7F000B80
	v_cvt_f32_i32_e32 v129, v129                               // 00000000707C: 7F020B81
	v_cvt_f32_i32_e32 v130, v130                               // 000000007080: 7F040B82
	v_cvt_f32_i32_e32 v131, v131                               // 000000007084: 7F060B83
	v_mul_f32_e32 v128, v14, v128                              // 000000007088: 0B01010E
	v_mul_f32_e32 v129, v14, v129                              // 00000000708C: 0B03030E
	v_mul_f32_e32 v130, v14, v130                              // 000000007090: 0B05050E
	v_mul_f32_e32 v131, v14, v131                              // 000000007094: 0B07070E
	v_mul_f32_dpp v128, v16, v128 row_newbcast:0 row_mask:0xf bank_mask:0xf// 000000007098: 0B0100FA FF015010
	v_mul_f32_dpp v129, v16, v129 row_newbcast:1 row_mask:0xf bank_mask:0xf// 0000000070A0: 0B0302FA FF015110
	v_mul_f32_dpp v130, v16, v130 row_newbcast:2 row_mask:0xf bank_mask:0xf// 0000000070A8: 0B0504FA FF015210
	v_mul_f32_dpp v131, v16, v131 row_newbcast:3 row_mask:0xf bank_mask:0xf// 0000000070B0: 0B0706FA FF015310
	v_cvt_f32_i32_e32 v132, v132                               // 0000000070B8: 7F080B84
	v_cvt_f32_i32_e32 v133, v133                               // 0000000070BC: 7F0A0B85
	v_cvt_f32_i32_e32 v134, v134                               // 0000000070C0: 7F0C0B86
	v_cvt_f32_i32_e32 v135, v135                               // 0000000070C4: 7F0E0B87
	v_mul_f32_e32 v132, v15, v132                              // 0000000070C8: 0B09090F
	v_mul_f32_e32 v133, v15, v133                              // 0000000070CC: 0B0B0B0F
	v_mul_f32_e32 v134, v15, v134                              // 0000000070D0: 0B0D0D0F
	v_mul_f32_e32 v135, v15, v135                              // 0000000070D4: 0B0F0F0F
	v_mul_f32_dpp v132, v16, v132 row_newbcast:0 row_mask:0xf bank_mask:0xf// 0000000070D8: 0B0908FA FF015010
	v_mul_f32_dpp v133, v16, v133 row_newbcast:1 row_mask:0xf bank_mask:0xf// 0000000070E0: 0B0B0AFA FF015110
	v_mul_f32_dpp v134, v16, v134 row_newbcast:2 row_mask:0xf bank_mask:0xf// 0000000070E8: 0B0D0CFA FF015210
	v_mul_f32_dpp v135, v16, v135 row_newbcast:3 row_mask:0xf bank_mask:0xf// 0000000070F0: 0B0F0EFA FF015310
	v_cvt_f32_i32_e32 v136, v136                               // 0000000070F8: 7F100B88
	v_cvt_f32_i32_e32 v137, v137                               // 0000000070FC: 7F120B89
	v_cvt_f32_i32_e32 v138, v138                               // 000000007100: 7F140B8A
	v_cvt_f32_i32_e32 v139, v139                               // 000000007104: 7F160B8B
	v_mul_f32_e32 v136, v14, v136                              // 000000007108: 0B11110E
	v_mul_f32_e32 v137, v14, v137                              // 00000000710C: 0B13130E
	v_mul_f32_e32 v138, v14, v138                              // 000000007110: 0B15150E
	v_mul_f32_e32 v139, v14, v139                              // 000000007114: 0B17170E
	v_mul_f32_dpp v136, v16, v136 row_newbcast:4 row_mask:0xf bank_mask:0xf// 000000007118: 0B1110FA FF015410
	v_mul_f32_dpp v137, v16, v137 row_newbcast:5 row_mask:0xf bank_mask:0xf// 000000007120: 0B1312FA FF015510
	v_mul_f32_dpp v138, v16, v138 row_newbcast:6 row_mask:0xf bank_mask:0xf// 000000007128: 0B1514FA FF015610
	v_mul_f32_dpp v139, v16, v139 row_newbcast:7 row_mask:0xf bank_mask:0xf// 000000007130: 0B1716FA FF015710
	v_cvt_f32_i32_e32 v140, v140                               // 000000007138: 7F180B8C
	v_cvt_f32_i32_e32 v141, v141                               // 00000000713C: 7F1A0B8D
	v_cvt_f32_i32_e32 v142, v142                               // 000000007140: 7F1C0B8E
	v_cvt_f32_i32_e32 v143, v143                               // 000000007144: 7F1E0B8F
	v_mul_f32_e32 v140, v15, v140                              // 000000007148: 0B19190F
	v_mul_f32_e32 v141, v15, v141                              // 00000000714C: 0B1B1B0F
	v_mul_f32_e32 v142, v15, v142                              // 000000007150: 0B1D1D0F
	v_mul_f32_e32 v143, v15, v143                              // 000000007154: 0B1F1F0F
	v_mul_f32_dpp v140, v16, v140 row_newbcast:4 row_mask:0xf bank_mask:0xf// 000000007158: 0B1918FA FF015410
	v_mul_f32_dpp v141, v16, v141 row_newbcast:5 row_mask:0xf bank_mask:0xf// 000000007160: 0B1B1AFA FF015510
	v_mul_f32_dpp v142, v16, v142 row_newbcast:6 row_mask:0xf bank_mask:0xf// 000000007168: 0B1D1CFA FF015610
	v_mul_f32_dpp v143, v16, v143 row_newbcast:7 row_mask:0xf bank_mask:0xf// 000000007170: 0B1F1EFA FF015710
	v_cvt_f32_i32_e32 v144, v144                               // 000000007178: 7F200B90
	v_cvt_f32_i32_e32 v145, v145                               // 00000000717C: 7F220B91
	v_cvt_f32_i32_e32 v146, v146                               // 000000007180: 7F240B92
	v_cvt_f32_i32_e32 v147, v147                               // 000000007184: 7F260B93
	v_mul_f32_e32 v144, v14, v144                              // 000000007188: 0B21210E
	v_mul_f32_e32 v145, v14, v145                              // 00000000718C: 0B23230E
	v_mul_f32_e32 v146, v14, v146                              // 000000007190: 0B25250E
	v_mul_f32_e32 v147, v14, v147                              // 000000007194: 0B27270E
	v_mul_f32_dpp v144, v16, v144 row_newbcast:8 row_mask:0xf bank_mask:0xf// 000000007198: 0B2120FA FF015810
	v_mul_f32_dpp v145, v16, v145 row_newbcast:9 row_mask:0xf bank_mask:0xf// 0000000071A0: 0B2322FA FF015910
	v_mul_f32_dpp v146, v16, v146 row_newbcast:10 row_mask:0xf bank_mask:0xf// 0000000071A8: 0B2524FA FF015A10
	v_mul_f32_dpp v147, v16, v147 row_newbcast:11 row_mask:0xf bank_mask:0xf// 0000000071B0: 0B2726FA FF015B10
	v_cvt_f32_i32_e32 v148, v148                               // 0000000071B8: 7F280B94
	v_cvt_f32_i32_e32 v149, v149                               // 0000000071BC: 7F2A0B95
	v_cvt_f32_i32_e32 v150, v150                               // 0000000071C0: 7F2C0B96
	v_cvt_f32_i32_e32 v151, v151                               // 0000000071C4: 7F2E0B97
	v_mul_f32_e32 v148, v15, v148                              // 0000000071C8: 0B29290F
	v_mul_f32_e32 v149, v15, v149                              // 0000000071CC: 0B2B2B0F
	v_mul_f32_e32 v150, v15, v150                              // 0000000071D0: 0B2D2D0F
	v_mul_f32_e32 v151, v15, v151                              // 0000000071D4: 0B2F2F0F
	v_mul_f32_dpp v148, v16, v148 row_newbcast:8 row_mask:0xf bank_mask:0xf// 0000000071D8: 0B2928FA FF015810
	v_mul_f32_dpp v149, v16, v149 row_newbcast:9 row_mask:0xf bank_mask:0xf// 0000000071E0: 0B2B2AFA FF015910
	v_mul_f32_dpp v150, v16, v150 row_newbcast:10 row_mask:0xf bank_mask:0xf// 0000000071E8: 0B2D2CFA FF015A10
	v_mul_f32_dpp v151, v16, v151 row_newbcast:11 row_mask:0xf bank_mask:0xf// 0000000071F0: 0B2F2EFA FF015B10
	v_cvt_f32_i32_e32 v152, v152                               // 0000000071F8: 7F300B98
	v_cvt_f32_i32_e32 v153, v153                               // 0000000071FC: 7F320B99
	v_cvt_f32_i32_e32 v154, v154                               // 000000007200: 7F340B9A
	v_cvt_f32_i32_e32 v155, v155                               // 000000007204: 7F360B9B
	v_mul_f32_e32 v152, v14, v152                              // 000000007208: 0B31310E
	v_mul_f32_e32 v153, v14, v153                              // 00000000720C: 0B33330E
	v_mul_f32_e32 v154, v14, v154                              // 000000007210: 0B35350E
	v_mul_f32_e32 v155, v14, v155                              // 000000007214: 0B37370E
	v_mul_f32_dpp v152, v16, v152 row_newbcast:12 row_mask:0xf bank_mask:0xf// 000000007218: 0B3130FA FF015C10
	v_mul_f32_dpp v153, v16, v153 row_newbcast:13 row_mask:0xf bank_mask:0xf// 000000007220: 0B3332FA FF015D10
	v_mul_f32_dpp v154, v16, v154 row_newbcast:14 row_mask:0xf bank_mask:0xf// 000000007228: 0B3534FA FF015E10
	v_mul_f32_dpp v155, v16, v155 row_newbcast:15 row_mask:0xf bank_mask:0xf// 000000007230: 0B3736FA FF015F10
	v_cvt_f32_i32_e32 v156, v156                               // 000000007238: 7F380B9C
	v_cvt_f32_i32_e32 v157, v157                               // 00000000723C: 7F3A0B9D
	v_cvt_f32_i32_e32 v158, v158                               // 000000007240: 7F3C0B9E
	v_cvt_f32_i32_e32 v159, v159                               // 000000007244: 7F3E0B9F
	v_mul_f32_e32 v156, v15, v156                              // 000000007248: 0B39390F
	v_mul_f32_e32 v157, v15, v157                              // 00000000724C: 0B3B3B0F
	v_mul_f32_e32 v158, v15, v158                              // 000000007250: 0B3D3D0F
	v_mul_f32_e32 v159, v15, v159                              // 000000007254: 0B3F3F0F
	v_mul_f32_dpp v156, v16, v156 row_newbcast:12 row_mask:0xf bank_mask:0xf// 000000007258: 0B3938FA FF015C10
	v_mul_f32_dpp v157, v16, v157 row_newbcast:13 row_mask:0xf bank_mask:0xf// 000000007260: 0B3B3AFA FF015D10
	v_mul_f32_dpp v158, v16, v158 row_newbcast:14 row_mask:0xf bank_mask:0xf// 000000007268: 0B3D3CFA FF015E10
	v_mul_f32_dpp v159, v16, v159 row_newbcast:15 row_mask:0xf bank_mask:0xf// 000000007270: 0B3F3EFA FF015F10
	v_cvt_f32_i32_e32 v160, v160                               // 000000007278: 7F400BA0
	v_cvt_f32_i32_e32 v161, v161                               // 00000000727C: 7F420BA1
	v_cvt_f32_i32_e32 v162, v162                               // 000000007280: 7F440BA2
	v_cvt_f32_i32_e32 v163, v163                               // 000000007284: 7F460BA3
	v_mul_f32_e32 v160, v14, v160                              // 000000007288: 0B41410E
	v_mul_f32_e32 v161, v14, v161                              // 00000000728C: 0B43430E
	v_mul_f32_e32 v162, v14, v162                              // 000000007290: 0B45450E
	v_mul_f32_e32 v163, v14, v163                              // 000000007294: 0B47470E
	v_mul_f32_dpp v160, v17, v160 row_newbcast:0 row_mask:0xf bank_mask:0xf// 000000007298: 0B4140FA FF015011
	v_mul_f32_dpp v161, v17, v161 row_newbcast:1 row_mask:0xf bank_mask:0xf// 0000000072A0: 0B4342FA FF015111
	v_mul_f32_dpp v162, v17, v162 row_newbcast:2 row_mask:0xf bank_mask:0xf// 0000000072A8: 0B4544FA FF015211
	v_mul_f32_dpp v163, v17, v163 row_newbcast:3 row_mask:0xf bank_mask:0xf// 0000000072B0: 0B4746FA FF015311
	v_cvt_f32_i32_e32 v164, v164                               // 0000000072B8: 7F480BA4
	v_cvt_f32_i32_e32 v165, v165                               // 0000000072BC: 7F4A0BA5
	v_cvt_f32_i32_e32 v166, v166                               // 0000000072C0: 7F4C0BA6
	v_cvt_f32_i32_e32 v167, v167                               // 0000000072C4: 7F4E0BA7
	v_mul_f32_e32 v164, v15, v164                              // 0000000072C8: 0B49490F
	v_mul_f32_e32 v165, v15, v165                              // 0000000072CC: 0B4B4B0F
	v_mul_f32_e32 v166, v15, v166                              // 0000000072D0: 0B4D4D0F
	v_mul_f32_e32 v167, v15, v167                              // 0000000072D4: 0B4F4F0F
	v_mul_f32_dpp v164, v17, v164 row_newbcast:0 row_mask:0xf bank_mask:0xf// 0000000072D8: 0B4948FA FF015011
	v_mul_f32_dpp v165, v17, v165 row_newbcast:1 row_mask:0xf bank_mask:0xf// 0000000072E0: 0B4B4AFA FF015111
	v_mul_f32_dpp v166, v17, v166 row_newbcast:2 row_mask:0xf bank_mask:0xf// 0000000072E8: 0B4D4CFA FF015211
	v_mul_f32_dpp v167, v17, v167 row_newbcast:3 row_mask:0xf bank_mask:0xf// 0000000072F0: 0B4F4EFA FF015311
	v_cvt_f32_i32_e32 v168, v168                               // 0000000072F8: 7F500BA8
	v_cvt_f32_i32_e32 v169, v169                               // 0000000072FC: 7F520BA9
	v_cvt_f32_i32_e32 v170, v170                               // 000000007300: 7F540BAA
	v_cvt_f32_i32_e32 v171, v171                               // 000000007304: 7F560BAB
	v_mul_f32_e32 v168, v14, v168                              // 000000007308: 0B51510E
	v_mul_f32_e32 v169, v14, v169                              // 00000000730C: 0B53530E
	v_mul_f32_e32 v170, v14, v170                              // 000000007310: 0B55550E
	v_mul_f32_e32 v171, v14, v171                              // 000000007314: 0B57570E
	v_mul_f32_dpp v168, v17, v168 row_newbcast:4 row_mask:0xf bank_mask:0xf// 000000007318: 0B5150FA FF015411
	v_mul_f32_dpp v169, v17, v169 row_newbcast:5 row_mask:0xf bank_mask:0xf// 000000007320: 0B5352FA FF015511
	v_mul_f32_dpp v170, v17, v170 row_newbcast:6 row_mask:0xf bank_mask:0xf// 000000007328: 0B5554FA FF015611
	v_mul_f32_dpp v171, v17, v171 row_newbcast:7 row_mask:0xf bank_mask:0xf// 000000007330: 0B5756FA FF015711
	v_cvt_f32_i32_e32 v172, v172                               // 000000007338: 7F580BAC
	v_cvt_f32_i32_e32 v173, v173                               // 00000000733C: 7F5A0BAD
	v_cvt_f32_i32_e32 v174, v174                               // 000000007340: 7F5C0BAE
	v_cvt_f32_i32_e32 v175, v175                               // 000000007344: 7F5E0BAF
	v_mul_f32_e32 v172, v15, v172                              // 000000007348: 0B59590F
	v_mul_f32_e32 v173, v15, v173                              // 00000000734C: 0B5B5B0F
	v_mul_f32_e32 v174, v15, v174                              // 000000007350: 0B5D5D0F
	v_mul_f32_e32 v175, v15, v175                              // 000000007354: 0B5F5F0F
	v_mul_f32_dpp v172, v17, v172 row_newbcast:4 row_mask:0xf bank_mask:0xf// 000000007358: 0B5958FA FF015411
	v_mul_f32_dpp v173, v17, v173 row_newbcast:5 row_mask:0xf bank_mask:0xf// 000000007360: 0B5B5AFA FF015511
	v_mul_f32_dpp v174, v17, v174 row_newbcast:6 row_mask:0xf bank_mask:0xf// 000000007368: 0B5D5CFA FF015611
	v_mul_f32_dpp v175, v17, v175 row_newbcast:7 row_mask:0xf bank_mask:0xf// 000000007370: 0B5F5EFA FF015711
	s_waitcnt vmcnt(20)                                        // 000000007378: BF8C4F74
	buffer_load_dwordx4 a[0:3], v40, s[12:15], 0 offen         // 00000000737C: E05C1000 80830028
	v_mul_f32_e64 v48, -v128, s6                               // 000000007384: D1050030 20000D80
	v_mul_f32_e64 v49, -v129, s6                               // 00000000738C: D1050031 20000D81
	v_mul_f32_e64 v50, -v130, s6                               // 000000007394: D1050032 20000D82
	v_mul_f32_e64 v51, -v131, s6                               // 00000000739C: D1050033 20000D83
	v_exp_f32_e32 v48, v48                                     // 0000000073A4: 7E604130
	v_exp_f32_e32 v49, v49                                     // 0000000073A8: 7E624131
	v_exp_f32_e32 v50, v50                                     // 0000000073AC: 7E644132
	v_exp_f32_e32 v51, v51                                     // 0000000073B0: 7E664133
	buffer_load_dwordx4 a[4:7], v41, s[12:15], 0 offen         // 0000000073B4: E05C1000 80830429
	v_add_f32_e64 v48, v48, 1.0                                // 0000000073BC: D1010030 0001E530
	v_add_f32_e64 v49, v49, 1.0                                // 0000000073C4: D1010031 0001E531
	v_add_f32_e64 v50, v50, 1.0                                // 0000000073CC: D1010032 0001E532
	v_add_f32_e64 v51, v51, 1.0                                // 0000000073D4: D1010033 0001E533
	v_rcp_f32_e32 v48, v48                                     // 0000000073DC: 7E604530
	v_rcp_f32_e32 v49, v49                                     // 0000000073E0: 7E624531
	v_rcp_f32_e32 v50, v50                                     // 0000000073E4: 7E644532
	v_rcp_f32_e32 v51, v51                                     // 0000000073E8: 7E664533
	v_mul_f32_e32 v128, v128, v48                              // 0000000073EC: 0B006180
	v_mul_f32_e32 v129, v129, v49                              // 0000000073F0: 0B026381
	v_mul_f32_e32 v130, v130, v50                              // 0000000073F4: 0B046582
	v_mul_f32_e32 v131, v131, v51                              // 0000000073F8: 0B066783
	buffer_load_dwordx4 a[8:11], v42, s[12:15], 0 offen        // 0000000073FC: E05C1000 8083082A
	v_mul_f32_e64 v48, -v132, s6                               // 000000007404: D1050030 20000D84
	v_mul_f32_e64 v49, -v133, s6                               // 00000000740C: D1050031 20000D85
	v_mul_f32_e64 v50, -v134, s6                               // 000000007414: D1050032 20000D86
	v_mul_f32_e64 v51, -v135, s6                               // 00000000741C: D1050033 20000D87
	v_exp_f32_e32 v48, v48                                     // 000000007424: 7E604130
	v_exp_f32_e32 v49, v49                                     // 000000007428: 7E624131
	v_exp_f32_e32 v50, v50                                     // 00000000742C: 7E644132
	v_exp_f32_e32 v51, v51                                     // 000000007430: 7E664133
	buffer_load_dwordx4 a[12:15], v43, s[12:15], 0 offen       // 000000007434: E05C1000 80830C2B
	s_add_u32 s12, s78, s12                                    // 00000000743C: 800C0C4E
	s_addc_u32 s13, 0, s13                                     // 000000007440: 820D0D80
	v_add_f32_e64 v48, v48, 1.0                                // 000000007444: D1010030 0001E530
	v_add_f32_e64 v49, v49, 1.0                                // 00000000744C: D1010031 0001E531
	v_add_f32_e64 v50, v50, 1.0                                // 000000007454: D1010032 0001E532
	v_add_f32_e64 v51, v51, 1.0                                // 00000000745C: D1010033 0001E533
	v_rcp_f32_e32 v48, v48                                     // 000000007464: 7E604530
	v_rcp_f32_e32 v49, v49                                     // 000000007468: 7E624531
	v_rcp_f32_e32 v50, v50                                     // 00000000746C: 7E644532
	v_rcp_f32_e32 v51, v51                                     // 000000007470: 7E664533
	v_mul_f32_e32 v132, v132, v48                              // 000000007474: 0B086184
	v_mul_f32_e32 v133, v133, v49                              // 000000007478: 0B0A6385
	v_mul_f32_e32 v134, v134, v50                              // 00000000747C: 0B0C6586
	v_mul_f32_e32 v135, v135, v51                              // 000000007480: 0B0E6787
	s_waitcnt vmcnt(20)                                        // 000000007484: BF8C4F74
	buffer_load_dwordx4 a[16:19], v40, s[12:15], 0 offen       // 000000007488: E05C1000 80831028
	v_mul_f32_e64 v48, -v136, s6                               // 000000007490: D1050030 20000D88
	v_mul_f32_e64 v49, -v137, s6                               // 000000007498: D1050031 20000D89
	v_mul_f32_e64 v50, -v138, s6                               // 0000000074A0: D1050032 20000D8A
	v_mul_f32_e64 v51, -v139, s6                               // 0000000074A8: D1050033 20000D8B
	v_exp_f32_e32 v48, v48                                     // 0000000074B0: 7E604130
	v_exp_f32_e32 v49, v49                                     // 0000000074B4: 7E624131
	v_exp_f32_e32 v50, v50                                     // 0000000074B8: 7E644132
	v_exp_f32_e32 v51, v51                                     // 0000000074BC: 7E664133
	buffer_load_dwordx4 a[20:23], v41, s[12:15], 0 offen       // 0000000074C0: E05C1000 80831429
	v_add_f32_e64 v48, v48, 1.0                                // 0000000074C8: D1010030 0001E530
	v_add_f32_e64 v49, v49, 1.0                                // 0000000074D0: D1010031 0001E531
	v_add_f32_e64 v50, v50, 1.0                                // 0000000074D8: D1010032 0001E532
	v_add_f32_e64 v51, v51, 1.0                                // 0000000074E0: D1010033 0001E533
	v_rcp_f32_e32 v48, v48                                     // 0000000074E8: 7E604530
	v_rcp_f32_e32 v49, v49                                     // 0000000074EC: 7E624531
	v_rcp_f32_e32 v50, v50                                     // 0000000074F0: 7E644532
	v_rcp_f32_e32 v51, v51                                     // 0000000074F4: 7E664533
	v_mul_f32_e32 v136, v136, v48                              // 0000000074F8: 0B106188
	v_mul_f32_e32 v137, v137, v49                              // 0000000074FC: 0B126389
	v_mul_f32_e32 v138, v138, v50                              // 000000007500: 0B14658A
	v_mul_f32_e32 v139, v139, v51                              // 000000007504: 0B16678B
	buffer_load_dwordx4 a[24:27], v42, s[12:15], 0 offen       // 000000007508: E05C1000 8083182A
	v_mul_f32_e64 v48, -v140, s6                               // 000000007510: D1050030 20000D8C
	v_mul_f32_e64 v49, -v141, s6                               // 000000007518: D1050031 20000D8D
	v_mul_f32_e64 v50, -v142, s6                               // 000000007520: D1050032 20000D8E
	v_mul_f32_e64 v51, -v143, s6                               // 000000007528: D1050033 20000D8F
	v_exp_f32_e32 v48, v48                                     // 000000007530: 7E604130
	v_exp_f32_e32 v49, v49                                     // 000000007534: 7E624131
	v_exp_f32_e32 v50, v50                                     // 000000007538: 7E644132
	v_exp_f32_e32 v51, v51                                     // 00000000753C: 7E664133
	buffer_load_dwordx4 a[28:31], v43, s[12:15], 0 offen       // 000000007540: E05C1000 80831C2B
	s_add_u32 s12, s78, s12                                    // 000000007548: 800C0C4E
	s_addc_u32 s13, 0, s13                                     // 00000000754C: 820D0D80
	v_add_f32_e64 v48, v48, 1.0                                // 000000007550: D1010030 0001E530
	v_add_f32_e64 v49, v49, 1.0                                // 000000007558: D1010031 0001E531
	v_add_f32_e64 v50, v50, 1.0                                // 000000007560: D1010032 0001E532
	v_add_f32_e64 v51, v51, 1.0                                // 000000007568: D1010033 0001E533
	v_rcp_f32_e32 v48, v48                                     // 000000007570: 7E604530
	v_rcp_f32_e32 v49, v49                                     // 000000007574: 7E624531
	v_rcp_f32_e32 v50, v50                                     // 000000007578: 7E644532
	v_rcp_f32_e32 v51, v51                                     // 00000000757C: 7E664533
	v_mul_f32_e32 v140, v140, v48                              // 000000007580: 0B18618C
	v_mul_f32_e32 v141, v141, v49                              // 000000007584: 0B1A638D
	v_mul_f32_e32 v142, v142, v50                              // 000000007588: 0B1C658E
	v_mul_f32_e32 v143, v143, v51                              // 00000000758C: 0B1E678F
	s_waitcnt vmcnt(20)                                        // 000000007590: BF8C4F74
	buffer_load_dwordx4 a[32:35], v40, s[12:15], 0 offen       // 000000007594: E05C1000 80832028
	v_mul_f32_e64 v48, -v144, s6                               // 00000000759C: D1050030 20000D90
	v_mul_f32_e64 v49, -v145, s6                               // 0000000075A4: D1050031 20000D91
	v_mul_f32_e64 v50, -v146, s6                               // 0000000075AC: D1050032 20000D92
	v_mul_f32_e64 v51, -v147, s6                               // 0000000075B4: D1050033 20000D93
	v_exp_f32_e32 v48, v48                                     // 0000000075BC: 7E604130
	v_exp_f32_e32 v49, v49                                     // 0000000075C0: 7E624131
	v_exp_f32_e32 v50, v50                                     // 0000000075C4: 7E644132
	v_exp_f32_e32 v51, v51                                     // 0000000075C8: 7E664133
	buffer_load_dwordx4 a[36:39], v41, s[12:15], 0 offen       // 0000000075CC: E05C1000 80832429
	v_add_f32_e64 v48, v48, 1.0                                // 0000000075D4: D1010030 0001E530
	v_add_f32_e64 v49, v49, 1.0                                // 0000000075DC: D1010031 0001E531
	v_add_f32_e64 v50, v50, 1.0                                // 0000000075E4: D1010032 0001E532
	v_add_f32_e64 v51, v51, 1.0                                // 0000000075EC: D1010033 0001E533
	v_rcp_f32_e32 v48, v48                                     // 0000000075F4: 7E604530
	v_rcp_f32_e32 v49, v49                                     // 0000000075F8: 7E624531
	v_rcp_f32_e32 v50, v50                                     // 0000000075FC: 7E644532
	v_rcp_f32_e32 v51, v51                                     // 000000007600: 7E664533
	v_mul_f32_e32 v144, v144, v48                              // 000000007604: 0B206190
	v_mul_f32_e32 v145, v145, v49                              // 000000007608: 0B226391
	v_mul_f32_e32 v146, v146, v50                              // 00000000760C: 0B246592
	v_mul_f32_e32 v147, v147, v51                              // 000000007610: 0B266793
	buffer_load_dwordx4 a[40:43], v42, s[12:15], 0 offen       // 000000007614: E05C1000 8083282A
	v_mul_f32_e64 v48, -v148, s6                               // 00000000761C: D1050030 20000D94
	v_mul_f32_e64 v49, -v149, s6                               // 000000007624: D1050031 20000D95
	v_mul_f32_e64 v50, -v150, s6                               // 00000000762C: D1050032 20000D96
	v_mul_f32_e64 v51, -v151, s6                               // 000000007634: D1050033 20000D97
	v_exp_f32_e32 v48, v48                                     // 00000000763C: 7E604130
	v_exp_f32_e32 v49, v49                                     // 000000007640: 7E624131
	v_exp_f32_e32 v50, v50                                     // 000000007644: 7E644132
	v_exp_f32_e32 v51, v51                                     // 000000007648: 7E664133
	buffer_load_dwordx4 a[44:47], v43, s[12:15], 0 offen       // 00000000764C: E05C1000 80832C2B
	s_add_u32 s12, s78, s12                                    // 000000007654: 800C0C4E
	s_addc_u32 s13, 0, s13                                     // 000000007658: 820D0D80
	v_add_f32_e64 v48, v48, 1.0                                // 00000000765C: D1010030 0001E530
	v_add_f32_e64 v49, v49, 1.0                                // 000000007664: D1010031 0001E531
	v_add_f32_e64 v50, v50, 1.0                                // 00000000766C: D1010032 0001E532
	v_add_f32_e64 v51, v51, 1.0                                // 000000007674: D1010033 0001E533
	v_rcp_f32_e32 v48, v48                                     // 00000000767C: 7E604530
	v_rcp_f32_e32 v49, v49                                     // 000000007680: 7E624531
	v_rcp_f32_e32 v50, v50                                     // 000000007684: 7E644532
	v_rcp_f32_e32 v51, v51                                     // 000000007688: 7E664533
	v_mul_f32_e32 v148, v148, v48                              // 00000000768C: 0B286194
	v_mul_f32_e32 v149, v149, v49                              // 000000007690: 0B2A6395
	v_mul_f32_e32 v150, v150, v50                              // 000000007694: 0B2C6596
	v_mul_f32_e32 v151, v151, v51                              // 000000007698: 0B2E6797
	s_waitcnt vmcnt(20)                                        // 00000000769C: BF8C4F74
	buffer_load_dwordx4 a[48:51], v40, s[12:15], 0 offen       // 0000000076A0: E05C1000 80833028
	v_mul_f32_e64 v48, -v152, s6                               // 0000000076A8: D1050030 20000D98
	v_mul_f32_e64 v49, -v153, s6                               // 0000000076B0: D1050031 20000D99
	v_mul_f32_e64 v50, -v154, s6                               // 0000000076B8: D1050032 20000D9A
	v_mul_f32_e64 v51, -v155, s6                               // 0000000076C0: D1050033 20000D9B
	v_exp_f32_e32 v48, v48                                     // 0000000076C8: 7E604130
	v_exp_f32_e32 v49, v49                                     // 0000000076CC: 7E624131
	v_exp_f32_e32 v50, v50                                     // 0000000076D0: 7E644132
	v_exp_f32_e32 v51, v51                                     // 0000000076D4: 7E664133
	buffer_load_dwordx4 a[52:55], v41, s[12:15], 0 offen       // 0000000076D8: E05C1000 80833429
	v_add_f32_e64 v48, v48, 1.0                                // 0000000076E0: D1010030 0001E530
	v_add_f32_e64 v49, v49, 1.0                                // 0000000076E8: D1010031 0001E531
	v_add_f32_e64 v50, v50, 1.0                                // 0000000076F0: D1010032 0001E532
	v_add_f32_e64 v51, v51, 1.0                                // 0000000076F8: D1010033 0001E533
	v_rcp_f32_e32 v48, v48                                     // 000000007700: 7E604530
	v_rcp_f32_e32 v49, v49                                     // 000000007704: 7E624531
	v_rcp_f32_e32 v50, v50                                     // 000000007708: 7E644532
	v_rcp_f32_e32 v51, v51                                     // 00000000770C: 7E664533
	v_mul_f32_e32 v152, v152, v48                              // 000000007710: 0B306198
	v_mul_f32_e32 v153, v153, v49                              // 000000007714: 0B326399
	v_mul_f32_e32 v154, v154, v50                              // 000000007718: 0B34659A
	v_mul_f32_e32 v155, v155, v51                              // 00000000771C: 0B36679B
	buffer_load_dwordx4 a[56:59], v42, s[12:15], 0 offen       // 000000007720: E05C1000 8083382A
	v_mul_f32_e64 v48, -v156, s6                               // 000000007728: D1050030 20000D9C
	v_mul_f32_e64 v49, -v157, s6                               // 000000007730: D1050031 20000D9D
	v_mul_f32_e64 v50, -v158, s6                               // 000000007738: D1050032 20000D9E
	v_mul_f32_e64 v51, -v159, s6                               // 000000007740: D1050033 20000D9F
	v_exp_f32_e32 v48, v48                                     // 000000007748: 7E604130
	v_exp_f32_e32 v49, v49                                     // 00000000774C: 7E624131
	v_exp_f32_e32 v50, v50                                     // 000000007750: 7E644132
	v_exp_f32_e32 v51, v51                                     // 000000007754: 7E664133
	buffer_load_dwordx4 a[60:63], v43, s[12:15], 0 offen       // 000000007758: E05C1000 80833C2B
	s_add_u32 s12, s78, s12                                    // 000000007760: 800C0C4E
	s_addc_u32 s13, 0, s13                                     // 000000007764: 820D0D80
	v_add_f32_e64 v48, v48, 1.0                                // 000000007768: D1010030 0001E530
	v_add_f32_e64 v49, v49, 1.0                                // 000000007770: D1010031 0001E531
	v_add_f32_e64 v50, v50, 1.0                                // 000000007778: D1010032 0001E532
	v_add_f32_e64 v51, v51, 1.0                                // 000000007780: D1010033 0001E533
	v_rcp_f32_e32 v48, v48                                     // 000000007788: 7E604530
	v_rcp_f32_e32 v49, v49                                     // 00000000778C: 7E624531
	v_rcp_f32_e32 v50, v50                                     // 000000007790: 7E644532
	v_rcp_f32_e32 v51, v51                                     // 000000007794: 7E664533
	v_mul_f32_e32 v156, v156, v48                              // 000000007798: 0B38619C
	v_mul_f32_e32 v157, v157, v49                              // 00000000779C: 0B3A639D
	v_mul_f32_e32 v158, v158, v50                              // 0000000077A0: 0B3C659E
	v_mul_f32_e32 v159, v159, v51                              // 0000000077A4: 0B3E679F
	s_waitcnt vmcnt(20)                                        // 0000000077A8: BF8C4F74
	buffer_load_dwordx4 a[64:67], v40, s[12:15], 0 offen       // 0000000077AC: E05C1000 80834028
	v_mul_f32_e64 v48, -v160, s6                               // 0000000077B4: D1050030 20000DA0
	v_mul_f32_e64 v49, -v161, s6                               // 0000000077BC: D1050031 20000DA1
	v_mul_f32_e64 v50, -v162, s6                               // 0000000077C4: D1050032 20000DA2
	v_mul_f32_e64 v51, -v163, s6                               // 0000000077CC: D1050033 20000DA3
	v_exp_f32_e32 v48, v48                                     // 0000000077D4: 7E604130
	v_exp_f32_e32 v49, v49                                     // 0000000077D8: 7E624131
	v_exp_f32_e32 v50, v50                                     // 0000000077DC: 7E644132
	v_exp_f32_e32 v51, v51                                     // 0000000077E0: 7E664133
	buffer_load_dwordx4 a[68:71], v41, s[12:15], 0 offen       // 0000000077E4: E05C1000 80834429
	v_add_f32_e64 v48, v48, 1.0                                // 0000000077EC: D1010030 0001E530
	v_add_f32_e64 v49, v49, 1.0                                // 0000000077F4: D1010031 0001E531
	v_add_f32_e64 v50, v50, 1.0                                // 0000000077FC: D1010032 0001E532
	v_add_f32_e64 v51, v51, 1.0                                // 000000007804: D1010033 0001E533
	v_rcp_f32_e32 v48, v48                                     // 00000000780C: 7E604530
	v_rcp_f32_e32 v49, v49                                     // 000000007810: 7E624531
	v_rcp_f32_e32 v50, v50                                     // 000000007814: 7E644532
	v_rcp_f32_e32 v51, v51                                     // 000000007818: 7E664533
	v_mul_f32_e32 v160, v160, v48                              // 00000000781C: 0B4061A0
	v_mul_f32_e32 v161, v161, v49                              // 000000007820: 0B4263A1
	v_mul_f32_e32 v162, v162, v50                              // 000000007824: 0B4465A2
	v_mul_f32_e32 v163, v163, v51                              // 000000007828: 0B4667A3
	buffer_load_dwordx4 a[72:75], v42, s[12:15], 0 offen       // 00000000782C: E05C1000 8083482A
	v_mul_f32_e64 v48, -v164, s6                               // 000000007834: D1050030 20000DA4
	v_mul_f32_e64 v49, -v165, s6                               // 00000000783C: D1050031 20000DA5
	v_mul_f32_e64 v50, -v166, s6                               // 000000007844: D1050032 20000DA6
	v_mul_f32_e64 v51, -v167, s6                               // 00000000784C: D1050033 20000DA7
	v_exp_f32_e32 v48, v48                                     // 000000007854: 7E604130
	v_exp_f32_e32 v49, v49                                     // 000000007858: 7E624131
	v_exp_f32_e32 v50, v50                                     // 00000000785C: 7E644132
	v_exp_f32_e32 v51, v51                                     // 000000007860: 7E664133
	buffer_load_dwordx4 a[76:79], v43, s[12:15], 0 offen       // 000000007864: E05C1000 80834C2B
	s_add_u32 s12, s78, s12                                    // 00000000786C: 800C0C4E
	s_addc_u32 s13, 0, s13                                     // 000000007870: 820D0D80
	v_add_f32_e64 v48, v48, 1.0                                // 000000007874: D1010030 0001E530
	v_add_f32_e64 v49, v49, 1.0                                // 00000000787C: D1010031 0001E531
	v_add_f32_e64 v50, v50, 1.0                                // 000000007884: D1010032 0001E532
	v_add_f32_e64 v51, v51, 1.0                                // 00000000788C: D1010033 0001E533
	v_rcp_f32_e32 v48, v48                                     // 000000007894: 7E604530
	v_rcp_f32_e32 v49, v49                                     // 000000007898: 7E624531
	v_rcp_f32_e32 v50, v50                                     // 00000000789C: 7E644532
	v_rcp_f32_e32 v51, v51                                     // 0000000078A0: 7E664533
	v_mul_f32_e32 v164, v164, v48                              // 0000000078A4: 0B4861A4
	v_mul_f32_e32 v165, v165, v49                              // 0000000078A8: 0B4A63A5
	v_mul_f32_e32 v166, v166, v50                              // 0000000078AC: 0B4C65A6
	v_mul_f32_e32 v167, v167, v51                              // 0000000078B0: 0B4E67A7
	s_waitcnt vmcnt(20)                                        // 0000000078B4: BF8C4F74
	buffer_load_dwordx4 a[80:83], v40, s[12:15], 0 offen       // 0000000078B8: E05C1000 80835028
	v_mul_f32_e64 v48, -v168, s6                               // 0000000078C0: D1050030 20000DA8
	v_mul_f32_e64 v49, -v169, s6                               // 0000000078C8: D1050031 20000DA9
	v_mul_f32_e64 v50, -v170, s6                               // 0000000078D0: D1050032 20000DAA
	v_mul_f32_e64 v51, -v171, s6                               // 0000000078D8: D1050033 20000DAB
	v_exp_f32_e32 v48, v48                                     // 0000000078E0: 7E604130
	v_exp_f32_e32 v49, v49                                     // 0000000078E4: 7E624131
	v_exp_f32_e32 v50, v50                                     // 0000000078E8: 7E644132
	v_exp_f32_e32 v51, v51                                     // 0000000078EC: 7E664133
	buffer_load_dwordx4 a[84:87], v41, s[12:15], 0 offen       // 0000000078F0: E05C1000 80835429
	v_add_f32_e64 v48, v48, 1.0                                // 0000000078F8: D1010030 0001E530
	v_add_f32_e64 v49, v49, 1.0                                // 000000007900: D1010031 0001E531
	v_add_f32_e64 v50, v50, 1.0                                // 000000007908: D1010032 0001E532
	v_add_f32_e64 v51, v51, 1.0                                // 000000007910: D1010033 0001E533
	v_rcp_f32_e32 v48, v48                                     // 000000007918: 7E604530
	v_rcp_f32_e32 v49, v49                                     // 00000000791C: 7E624531
	v_rcp_f32_e32 v50, v50                                     // 000000007920: 7E644532
	v_rcp_f32_e32 v51, v51                                     // 000000007924: 7E664533
	v_mul_f32_e32 v168, v168, v48                              // 000000007928: 0B5061A8
	v_mul_f32_e32 v169, v169, v49                              // 00000000792C: 0B5263A9
	v_mul_f32_e32 v170, v170, v50                              // 000000007930: 0B5465AA
	v_mul_f32_e32 v171, v171, v51                              // 000000007934: 0B5667AB
	buffer_load_dwordx4 a[88:91], v42, s[12:15], 0 offen       // 000000007938: E05C1000 8083582A
	v_mul_f32_e64 v48, -v172, s6                               // 000000007940: D1050030 20000DAC
	v_mul_f32_e64 v49, -v173, s6                               // 000000007948: D1050031 20000DAD
	v_mul_f32_e64 v50, -v174, s6                               // 000000007950: D1050032 20000DAE
	v_mul_f32_e64 v51, -v175, s6                               // 000000007958: D1050033 20000DAF
	v_exp_f32_e32 v48, v48                                     // 000000007960: 7E604130
	v_exp_f32_e32 v49, v49                                     // 000000007964: 7E624131
	v_exp_f32_e32 v50, v50                                     // 000000007968: 7E644132
	v_exp_f32_e32 v51, v51                                     // 00000000796C: 7E664133
	buffer_load_dwordx4 a[92:95], v43, s[12:15], 0 offen       // 000000007970: E05C1000 80835C2B
	v_add_f32_e64 v48, v48, 1.0                                // 000000007978: D1010030 0001E530
	v_add_f32_e64 v49, v49, 1.0                                // 000000007980: D1010031 0001E531
	v_add_f32_e64 v50, v50, 1.0                                // 000000007988: D1010032 0001E532
	v_add_f32_e64 v51, v51, 1.0                                // 000000007990: D1010033 0001E533
	v_rcp_f32_e32 v48, v48                                     // 000000007998: 7E604530
	v_rcp_f32_e32 v49, v49                                     // 00000000799C: 7E624531
	v_rcp_f32_e32 v50, v50                                     // 0000000079A0: 7E644532
	v_rcp_f32_e32 v51, v51                                     // 0000000079A4: 7E664533
	v_mul_f32_e32 v172, v172, v48                              // 0000000079A8: 0B5861AC
	v_mul_f32_e32 v173, v173, v49                              // 0000000079AC: 0B5A63AD
	v_mul_f32_e32 v174, v174, v50                              // 0000000079B0: 0B5C65AE
	v_mul_f32_e32 v175, v175, v51                              // 0000000079B4: 0B5E67AF
	v_mul_f32_dpp v128, v18, v128 row_newbcast:0 row_mask:0xf bank_mask:0xf// 0000000079B8: 0B0100FA FF015012
	v_mul_f32_dpp v129, v18, v129 row_newbcast:1 row_mask:0xf bank_mask:0xf// 0000000079C0: 0B0302FA FF015112
	v_mul_f32_dpp v130, v18, v130 row_newbcast:2 row_mask:0xf bank_mask:0xf// 0000000079C8: 0B0504FA FF015212
	v_mul_f32_dpp v131, v18, v131 row_newbcast:3 row_mask:0xf bank_mask:0xf// 0000000079D0: 0B0706FA FF015312
	v_mul_f32_dpp v132, v18, v132 row_newbcast:0 row_mask:0xf bank_mask:0xf// 0000000079D8: 0B0908FA FF015012
	v_mul_f32_dpp v133, v18, v133 row_newbcast:1 row_mask:0xf bank_mask:0xf// 0000000079E0: 0B0B0AFA FF015112
	v_mul_f32_dpp v134, v18, v134 row_newbcast:2 row_mask:0xf bank_mask:0xf// 0000000079E8: 0B0D0CFA FF015212
	v_mul_f32_dpp v135, v18, v135 row_newbcast:3 row_mask:0xf bank_mask:0xf// 0000000079F0: 0B0F0EFA FF015312
	v_mul_f32_dpp v136, v18, v136 row_newbcast:4 row_mask:0xf bank_mask:0xf// 0000000079F8: 0B1110FA FF015412
	v_mul_f32_dpp v137, v18, v137 row_newbcast:5 row_mask:0xf bank_mask:0xf// 000000007A00: 0B1312FA FF015512
	v_mul_f32_dpp v138, v18, v138 row_newbcast:6 row_mask:0xf bank_mask:0xf// 000000007A08: 0B1514FA FF015612
	v_mul_f32_dpp v139, v18, v139 row_newbcast:7 row_mask:0xf bank_mask:0xf// 000000007A10: 0B1716FA FF015712
	v_mul_f32_dpp v140, v18, v140 row_newbcast:4 row_mask:0xf bank_mask:0xf// 000000007A18: 0B1918FA FF015412
	v_mul_f32_dpp v141, v18, v141 row_newbcast:5 row_mask:0xf bank_mask:0xf// 000000007A20: 0B1B1AFA FF015512
	v_mul_f32_dpp v142, v18, v142 row_newbcast:6 row_mask:0xf bank_mask:0xf// 000000007A28: 0B1D1CFA FF015612
	v_mul_f32_dpp v143, v18, v143 row_newbcast:7 row_mask:0xf bank_mask:0xf// 000000007A30: 0B1F1EFA FF015712
	v_mul_f32_dpp v144, v18, v144 row_newbcast:8 row_mask:0xf bank_mask:0xf// 000000007A38: 0B2120FA FF015812
	v_mul_f32_dpp v145, v18, v145 row_newbcast:9 row_mask:0xf bank_mask:0xf// 000000007A40: 0B2322FA FF015912
	v_mul_f32_dpp v146, v18, v146 row_newbcast:10 row_mask:0xf bank_mask:0xf// 000000007A48: 0B2524FA FF015A12
	v_mul_f32_dpp v147, v18, v147 row_newbcast:11 row_mask:0xf bank_mask:0xf// 000000007A50: 0B2726FA FF015B12
	v_mul_f32_dpp v148, v18, v148 row_newbcast:8 row_mask:0xf bank_mask:0xf// 000000007A58: 0B2928FA FF015812
	v_mul_f32_dpp v149, v18, v149 row_newbcast:9 row_mask:0xf bank_mask:0xf// 000000007A60: 0B2B2AFA FF015912
	v_mul_f32_dpp v150, v18, v150 row_newbcast:10 row_mask:0xf bank_mask:0xf// 000000007A68: 0B2D2CFA FF015A12
	v_mul_f32_dpp v151, v18, v151 row_newbcast:11 row_mask:0xf bank_mask:0xf// 000000007A70: 0B2F2EFA FF015B12
	v_mul_f32_dpp v152, v18, v152 row_newbcast:12 row_mask:0xf bank_mask:0xf// 000000007A78: 0B3130FA FF015C12
	v_mul_f32_dpp v153, v18, v153 row_newbcast:13 row_mask:0xf bank_mask:0xf// 000000007A80: 0B3332FA FF015D12
	v_mul_f32_dpp v154, v18, v154 row_newbcast:14 row_mask:0xf bank_mask:0xf// 000000007A88: 0B3534FA FF015E12
	v_mul_f32_dpp v155, v18, v155 row_newbcast:15 row_mask:0xf bank_mask:0xf// 000000007A90: 0B3736FA FF015F12
	v_mul_f32_dpp v156, v18, v156 row_newbcast:12 row_mask:0xf bank_mask:0xf// 000000007A98: 0B3938FA FF015C12
	v_mul_f32_dpp v157, v18, v157 row_newbcast:13 row_mask:0xf bank_mask:0xf// 000000007AA0: 0B3B3AFA FF015D12
	v_mul_f32_dpp v158, v18, v158 row_newbcast:14 row_mask:0xf bank_mask:0xf// 000000007AA8: 0B3D3CFA FF015E12
	v_mul_f32_dpp v159, v18, v159 row_newbcast:15 row_mask:0xf bank_mask:0xf// 000000007AB0: 0B3F3EFA FF015F12
	v_mul_f32_dpp v160, v19, v160 row_newbcast:0 row_mask:0xf bank_mask:0xf// 000000007AB8: 0B4140FA FF015013
	v_mul_f32_dpp v161, v19, v161 row_newbcast:1 row_mask:0xf bank_mask:0xf// 000000007AC0: 0B4342FA FF015113
	v_mul_f32_dpp v162, v19, v162 row_newbcast:2 row_mask:0xf bank_mask:0xf// 000000007AC8: 0B4544FA FF015213
	v_mul_f32_dpp v163, v19, v163 row_newbcast:3 row_mask:0xf bank_mask:0xf// 000000007AD0: 0B4746FA FF015313
	v_mul_f32_dpp v164, v19, v164 row_newbcast:0 row_mask:0xf bank_mask:0xf// 000000007AD8: 0B4948FA FF015013
	v_mul_f32_dpp v165, v19, v165 row_newbcast:1 row_mask:0xf bank_mask:0xf// 000000007AE0: 0B4B4AFA FF015113
	v_mul_f32_dpp v166, v19, v166 row_newbcast:2 row_mask:0xf bank_mask:0xf// 000000007AE8: 0B4D4CFA FF015213
	v_mul_f32_dpp v167, v19, v167 row_newbcast:3 row_mask:0xf bank_mask:0xf// 000000007AF0: 0B4F4EFA FF015313
	v_mul_f32_dpp v168, v19, v168 row_newbcast:4 row_mask:0xf bank_mask:0xf// 000000007AF8: 0B5150FA FF015413
	v_mul_f32_dpp v169, v19, v169 row_newbcast:5 row_mask:0xf bank_mask:0xf// 000000007B00: 0B5352FA FF015513
	v_mul_f32_dpp v170, v19, v170 row_newbcast:6 row_mask:0xf bank_mask:0xf// 000000007B08: 0B5554FA FF015613
	v_mul_f32_dpp v171, v19, v171 row_newbcast:7 row_mask:0xf bank_mask:0xf// 000000007B10: 0B5756FA FF015713
	v_mul_f32_dpp v172, v19, v172 row_newbcast:4 row_mask:0xf bank_mask:0xf// 000000007B18: 0B5958FA FF015413
	v_mul_f32_dpp v173, v19, v173 row_newbcast:5 row_mask:0xf bank_mask:0xf// 000000007B20: 0B5B5AFA FF015513
	v_mul_f32_dpp v174, v19, v174 row_newbcast:6 row_mask:0xf bank_mask:0xf// 000000007B28: 0B5D5CFA FF015613
	v_mul_f32_dpp v175, v19, v175 row_newbcast:7 row_mask:0xf bank_mask:0xf// 000000007B30: 0B5F5EFA FF015713
	buffer_load_dword v12, v5, s[16:19], 0 offen               // 000000007B38: E0501000 80040C05
	v_mov_b32_e32 v22, 0x358637bd                              // 000000007B40: 7E2C02FF 358637BD
	v_mov_b32_e32 v23, 0x358637bd                              // 000000007B48: 7E2E02FF 358637BD
	v_max3_f32 v22, |v128|, |v129|, v22                        // 000000007B50: D1D30316 045B0380
	v_max3_f32 v22, |v130|, |v131|, v22                        // 000000007B58: D1D30316 045B0782
	v_max3_f32 v23, |v132|, |v133|, v23                        // 000000007B60: D1D30317 045F0B84
	v_max3_f32 v23, |v134|, |v135|, v23                        // 000000007B68: D1D30317 045F0F86
	v_max3_f32 v22, |v136|, |v137|, v22                        // 000000007B70: D1D30316 045B1388
	v_max3_f32 v22, |v138|, |v139|, v22                        // 000000007B78: D1D30316 045B178A
	v_max3_f32 v23, |v140|, |v141|, v23                        // 000000007B80: D1D30317 045F1B8C
	v_max3_f32 v23, |v142|, |v143|, v23                        // 000000007B88: D1D30317 045F1F8E
	v_max3_f32 v22, |v144|, |v145|, v22                        // 000000007B90: D1D30316 045B2390
	v_max3_f32 v22, |v146|, |v147|, v22                        // 000000007B98: D1D30316 045B2792
	v_max3_f32 v23, |v148|, |v149|, v23                        // 000000007BA0: D1D30317 045F2B94
	v_max3_f32 v23, |v150|, |v151|, v23                        // 000000007BA8: D1D30317 045F2F96
	v_max3_f32 v22, |v152|, |v153|, v22                        // 000000007BB0: D1D30316 045B3398
	v_max3_f32 v22, |v154|, |v155|, v22                        // 000000007BB8: D1D30316 045B379A
	v_max3_f32 v23, |v156|, |v157|, v23                        // 000000007BC0: D1D30317 045F3B9C
	v_max3_f32 v23, |v158|, |v159|, v23                        // 000000007BC8: D1D30317 045F3F9E
	v_max3_f32 v22, |v160|, |v161|, v22                        // 000000007BD0: D1D30316 045B43A0
	v_max3_f32 v22, |v162|, |v163|, v22                        // 000000007BD8: D1D30316 045B47A2
	v_max3_f32 v23, |v164|, |v165|, v23                        // 000000007BE0: D1D30317 045F4BA4
	v_max3_f32 v23, |v166|, |v167|, v23                        // 000000007BE8: D1D30317 045F4FA6
	v_max3_f32 v22, |v168|, |v169|, v22                        // 000000007BF0: D1D30316 045B53A8
	v_max3_f32 v22, |v170|, |v171|, v22                        // 000000007BF8: D1D30316 045B57AA
	v_max3_f32 v23, |v172|, |v173|, v23                        // 000000007C00: D1D30317 045F5BAC
	v_max3_f32 v23, |v174|, |v175|, v23                        // 000000007C08: D1D30317 045F5FAE
	v_lshlrev_b32_e32 v48, 3, v0                               // 000000007C10: 24600083
	s_mul_i32 s60, 0x200, s7                                   // 000000007C14: 923C07FF 00000200
	v_add_u32_e32 v48, s60, v48                                // 000000007C1C: 6860603C
	ds_write_b64 v48, v[22:23] offset:16640                    // 000000007C20: D89A4100 00001630
	s_waitcnt lgkmcnt(0)                                       // 000000007C28: BF8CC07F
	s_barrier                                                  // 000000007C2C: BF8A0000
	v_and_b32_e32 v48, 15, v0                                  // 000000007C30: 2660008F
	v_lshlrev_b32_e32 v48, 3, v48                              // 000000007C34: 24606083
	ds_read_b64 v[96:97], v48 offset:16640                     // 000000007C38: D8EC4100 60000030
	ds_read_b64 v[98:99], v48 offset:16768                     // 000000007C40: D8EC4180 62000030
	ds_read_b64 v[100:101], v48 offset:16896                   // 000000007C48: D8EC4200 64000030
	ds_read_b64 v[102:103], v48 offset:17024                   // 000000007C50: D8EC4280 66000030
	ds_read_b64 v[104:105], v48 offset:17152                   // 000000007C58: D8EC4300 68000030
	ds_read_b64 v[106:107], v48 offset:17280                   // 000000007C60: D8EC4380 6A000030
	ds_read_b64 v[108:109], v48 offset:17408                   // 000000007C68: D8EC4400 6C000030
	ds_read_b64 v[110:111], v48 offset:17536                   // 000000007C70: D8EC4480 6E000030
	ds_read_b64 v[112:113], v48 offset:17664                   // 000000007C78: D8EC4500 70000030
	ds_read_b64 v[114:115], v48 offset:17792                   // 000000007C80: D8EC4580 72000030
	ds_read_b64 v[116:117], v48 offset:17920                   // 000000007C88: D8EC4600 74000030
	ds_read_b64 v[118:119], v48 offset:18048                   // 000000007C90: D8EC4680 76000030
	ds_read_b64 v[120:121], v48 offset:18176                   // 000000007C98: D8EC4700 78000030
	ds_read_b64 v[122:123], v48 offset:18304                   // 000000007CA0: D8EC4780 7A000030
	ds_read_b64 v[124:125], v48 offset:18432                   // 000000007CA8: D8EC4800 7C000030
	ds_read_b64 v[126:127], v48 offset:18560                   // 000000007CB0: D8EC4880 7E000030
	s_waitcnt lgkmcnt(0)                                       // 000000007CB8: BF8CC07F
	v_max3_f32 v22, |v96|, |v98|, v22                          // 000000007CBC: D1D30316 045AC560
	v_max3_f32 v23, |v97|, |v99|, v23                          // 000000007CC4: D1D30317 045EC761
	v_max3_f32 v22, |v100|, |v102|, v22                        // 000000007CCC: D1D30316 045ACD64
	v_max3_f32 v23, |v101|, |v103|, v23                        // 000000007CD4: D1D30317 045ECF65
	v_max3_f32 v22, |v104|, |v106|, v22                        // 000000007CDC: D1D30316 045AD568
	v_max3_f32 v23, |v105|, |v107|, v23                        // 000000007CE4: D1D30317 045ED769
	v_max3_f32 v22, |v108|, |v110|, v22                        // 000000007CEC: D1D30316 045ADD6C
	v_max3_f32 v23, |v109|, |v111|, v23                        // 000000007CF4: D1D30317 045EDF6D
	v_max3_f32 v22, |v112|, |v114|, v22                        // 000000007CFC: D1D30316 045AE570
	v_max3_f32 v23, |v113|, |v115|, v23                        // 000000007D04: D1D30317 045EE771
	v_max3_f32 v22, |v116|, |v118|, v22                        // 000000007D0C: D1D30316 045AED74
	v_max3_f32 v23, |v117|, |v119|, v23                        // 000000007D14: D1D30317 045EEF75
	v_max3_f32 v22, |v120|, |v122|, v22                        // 000000007D1C: D1D30316 045AF578
	v_max3_f32 v23, |v121|, |v123|, v23                        // 000000007D24: D1D30317 045EF779
	v_max3_f32 v22, |v124|, |v126|, v22                        // 000000007D2C: D1D30316 045AFD7C
	v_max3_f32 v23, |v125|, |v127|, v23                        // 000000007D34: D1D30317 045EFF7D
	v_rcp_f32_e32 v22, v22                                     // 000000007D3C: 7E2C4516
	v_rcp_f32_e32 v23, v23                                     // 000000007D40: 7E2E4517
	v_mul_f32_e32 v22, 0x42fe0000, v22                         // 000000007D44: 0A2C2CFF 42FE0000
	v_mul_f32_e32 v23, 0x42fe0000, v23                         // 000000007D4C: 0A2E2EFF 42FE0000
	v_mul_f32_e32 v128, v22, v128                              // 000000007D54: 0B010116
	v_mul_f32_e32 v129, v22, v129                              // 000000007D58: 0B030316
	v_mul_f32_e32 v130, v22, v130                              // 000000007D5C: 0B050516
	v_mul_f32_e32 v131, v22, v131                              // 000000007D60: 0B070716
	v_cvt_i32_f32_e32 v128, v128                               // 000000007D64: 7F001180
	v_cvt_i32_f32_e32 v129, v129                               // 000000007D68: 7F021181
	v_cvt_i32_f32_e32 v130, v130                               // 000000007D6C: 7F041182
	v_cvt_i32_f32_e32 v131, v131                               // 000000007D70: 7F061183
	v_perm_b32 v128, v129, v128, s53                           // 000000007D74: D1ED0080 00D70181
	v_perm_b32 v128, v130, v128, s54                           // 000000007D7C: D1ED0080 00DB0182
	v_perm_b32 v128, v131, v128, s55                           // 000000007D84: D1ED0080 00DF0183
	v_mul_f32_e32 v132, v23, v132                              // 000000007D8C: 0B090917
	v_mul_f32_e32 v133, v23, v133                              // 000000007D90: 0B0B0B17
	v_mul_f32_e32 v134, v23, v134                              // 000000007D94: 0B0D0D17
	v_mul_f32_e32 v135, v23, v135                              // 000000007D98: 0B0F0F17
	v_cvt_i32_f32_e32 v132, v132                               // 000000007D9C: 7F081184
	v_cvt_i32_f32_e32 v133, v133                               // 000000007DA0: 7F0A1185
	v_cvt_i32_f32_e32 v134, v134                               // 000000007DA4: 7F0C1186
	v_cvt_i32_f32_e32 v135, v135                               // 000000007DA8: 7F0E1187
	v_perm_b32 v129, v133, v132, s53                           // 000000007DAC: D1ED0081 00D70985
	v_perm_b32 v129, v134, v129, s54                           // 000000007DB4: D1ED0081 00DB0386
	v_perm_b32 v129, v135, v129, s55                           // 000000007DBC: D1ED0081 00DF0387
	v_mul_f32_e32 v136, v22, v136                              // 000000007DC4: 0B111116
	v_mul_f32_e32 v137, v22, v137                              // 000000007DC8: 0B131316
	v_mul_f32_e32 v138, v22, v138                              // 000000007DCC: 0B151516
	v_mul_f32_e32 v139, v22, v139                              // 000000007DD0: 0B171716
	v_cvt_i32_f32_e32 v136, v136                               // 000000007DD4: 7F101188
	v_cvt_i32_f32_e32 v137, v137                               // 000000007DD8: 7F121189
	v_cvt_i32_f32_e32 v138, v138                               // 000000007DDC: 7F14118A
	v_cvt_i32_f32_e32 v139, v139                               // 000000007DE0: 7F16118B
	v_perm_b32 v130, v137, v136, s53                           // 000000007DE4: D1ED0082 00D71189
	v_perm_b32 v130, v138, v130, s54                           // 000000007DEC: D1ED0082 00DB058A
	v_perm_b32 v130, v139, v130, s55                           // 000000007DF4: D1ED0082 00DF058B
	v_mul_f32_e32 v140, v23, v140                              // 000000007DFC: 0B191917
	v_mul_f32_e32 v141, v23, v141                              // 000000007E00: 0B1B1B17
	v_mul_f32_e32 v142, v23, v142                              // 000000007E04: 0B1D1D17
	v_mul_f32_e32 v143, v23, v143                              // 000000007E08: 0B1F1F17
	v_cvt_i32_f32_e32 v140, v140                               // 000000007E0C: 7F18118C
	v_cvt_i32_f32_e32 v141, v141                               // 000000007E10: 7F1A118D
	v_cvt_i32_f32_e32 v142, v142                               // 000000007E14: 7F1C118E
	v_cvt_i32_f32_e32 v143, v143                               // 000000007E18: 7F1E118F
	v_perm_b32 v131, v141, v140, s53                           // 000000007E1C: D1ED0083 00D7198D
	v_perm_b32 v131, v142, v131, s54                           // 000000007E24: D1ED0083 00DB078E
	v_perm_b32 v131, v143, v131, s55                           // 000000007E2C: D1ED0083 00DF078F
	v_mul_f32_e32 v144, v22, v144                              // 000000007E34: 0B212116
	v_mul_f32_e32 v145, v22, v145                              // 000000007E38: 0B232316
	v_mul_f32_e32 v146, v22, v146                              // 000000007E3C: 0B252516
	v_mul_f32_e32 v147, v22, v147                              // 000000007E40: 0B272716
	v_cvt_i32_f32_e32 v144, v144                               // 000000007E44: 7F201190
	v_cvt_i32_f32_e32 v145, v145                               // 000000007E48: 7F221191
	v_cvt_i32_f32_e32 v146, v146                               // 000000007E4C: 7F241192
	v_cvt_i32_f32_e32 v147, v147                               // 000000007E50: 7F261193
	v_perm_b32 v132, v145, v144, s53                           // 000000007E54: D1ED0084 00D72191
	v_perm_b32 v132, v146, v132, s54                           // 000000007E5C: D1ED0084 00DB0992
	v_perm_b32 v132, v147, v132, s55                           // 000000007E64: D1ED0084 00DF0993
	v_mul_f32_e32 v148, v23, v148                              // 000000007E6C: 0B292917
	v_mul_f32_e32 v149, v23, v149                              // 000000007E70: 0B2B2B17
	v_mul_f32_e32 v150, v23, v150                              // 000000007E74: 0B2D2D17
	v_mul_f32_e32 v151, v23, v151                              // 000000007E78: 0B2F2F17
	v_cvt_i32_f32_e32 v148, v148                               // 000000007E7C: 7F281194
	v_cvt_i32_f32_e32 v149, v149                               // 000000007E80: 7F2A1195
	v_cvt_i32_f32_e32 v150, v150                               // 000000007E84: 7F2C1196
	v_cvt_i32_f32_e32 v151, v151                               // 000000007E88: 7F2E1197
	v_perm_b32 v133, v149, v148, s53                           // 000000007E8C: D1ED0085 00D72995
	v_perm_b32 v133, v150, v133, s54                           // 000000007E94: D1ED0085 00DB0B96
	v_perm_b32 v133, v151, v133, s55                           // 000000007E9C: D1ED0085 00DF0B97
	v_mul_f32_e32 v152, v22, v152                              // 000000007EA4: 0B313116
	v_mul_f32_e32 v153, v22, v153                              // 000000007EA8: 0B333316
	v_mul_f32_e32 v154, v22, v154                              // 000000007EAC: 0B353516
	v_mul_f32_e32 v155, v22, v155                              // 000000007EB0: 0B373716
	v_cvt_i32_f32_e32 v152, v152                               // 000000007EB4: 7F301198
	v_cvt_i32_f32_e32 v153, v153                               // 000000007EB8: 7F321199
	v_cvt_i32_f32_e32 v154, v154                               // 000000007EBC: 7F34119A
	v_cvt_i32_f32_e32 v155, v155                               // 000000007EC0: 7F36119B
	v_perm_b32 v134, v153, v152, s53                           // 000000007EC4: D1ED0086 00D73199
	v_perm_b32 v134, v154, v134, s54                           // 000000007ECC: D1ED0086 00DB0D9A
	v_perm_b32 v134, v155, v134, s55                           // 000000007ED4: D1ED0086 00DF0D9B
	v_mul_f32_e32 v156, v23, v156                              // 000000007EDC: 0B393917
	v_mul_f32_e32 v157, v23, v157                              // 000000007EE0: 0B3B3B17
	v_mul_f32_e32 v158, v23, v158                              // 000000007EE4: 0B3D3D17
	v_mul_f32_e32 v159, v23, v159                              // 000000007EE8: 0B3F3F17
	v_cvt_i32_f32_e32 v156, v156                               // 000000007EEC: 7F38119C
	v_cvt_i32_f32_e32 v157, v157                               // 000000007EF0: 7F3A119D
	v_cvt_i32_f32_e32 v158, v158                               // 000000007EF4: 7F3C119E
	v_cvt_i32_f32_e32 v159, v159                               // 000000007EF8: 7F3E119F
	v_perm_b32 v135, v157, v156, s53                           // 000000007EFC: D1ED0087 00D7399D
	v_perm_b32 v135, v158, v135, s54                           // 000000007F04: D1ED0087 00DB0F9E
	v_perm_b32 v135, v159, v135, s55                           // 000000007F0C: D1ED0087 00DF0F9F
	v_mul_f32_e32 v160, v22, v160                              // 000000007F14: 0B414116
	v_mul_f32_e32 v161, v22, v161                              // 000000007F18: 0B434316
	v_mul_f32_e32 v162, v22, v162                              // 000000007F1C: 0B454516
	v_mul_f32_e32 v163, v22, v163                              // 000000007F20: 0B474716
	v_cvt_i32_f32_e32 v160, v160                               // 000000007F24: 7F4011A0
	v_cvt_i32_f32_e32 v161, v161                               // 000000007F28: 7F4211A1
	v_cvt_i32_f32_e32 v162, v162                               // 000000007F2C: 7F4411A2
	v_cvt_i32_f32_e32 v163, v163                               // 000000007F30: 7F4611A3
	v_perm_b32 v136, v161, v160, s53                           // 000000007F34: D1ED0088 00D741A1
	v_perm_b32 v136, v162, v136, s54                           // 000000007F3C: D1ED0088 00DB11A2
	v_perm_b32 v136, v163, v136, s55                           // 000000007F44: D1ED0088 00DF11A3
	v_mul_f32_e32 v164, v23, v164                              // 000000007F4C: 0B494917
	v_mul_f32_e32 v165, v23, v165                              // 000000007F50: 0B4B4B17
	v_mul_f32_e32 v166, v23, v166                              // 000000007F54: 0B4D4D17
	v_mul_f32_e32 v167, v23, v167                              // 000000007F58: 0B4F4F17
	v_cvt_i32_f32_e32 v164, v164                               // 000000007F5C: 7F4811A4
	v_cvt_i32_f32_e32 v165, v165                               // 000000007F60: 7F4A11A5
	v_cvt_i32_f32_e32 v166, v166                               // 000000007F64: 7F4C11A6
	v_cvt_i32_f32_e32 v167, v167                               // 000000007F68: 7F4E11A7
	v_perm_b32 v137, v165, v164, s53                           // 000000007F6C: D1ED0089 00D749A5
	v_perm_b32 v137, v166, v137, s54                           // 000000007F74: D1ED0089 00DB13A6
	v_perm_b32 v137, v167, v137, s55                           // 000000007F7C: D1ED0089 00DF13A7
	v_mul_f32_e32 v168, v22, v168                              // 000000007F84: 0B515116
	v_mul_f32_e32 v169, v22, v169                              // 000000007F88: 0B535316
	v_mul_f32_e32 v170, v22, v170                              // 000000007F8C: 0B555516
	v_mul_f32_e32 v171, v22, v171                              // 000000007F90: 0B575716
	v_cvt_i32_f32_e32 v168, v168                               // 000000007F94: 7F5011A8
	v_cvt_i32_f32_e32 v169, v169                               // 000000007F98: 7F5211A9
	v_cvt_i32_f32_e32 v170, v170                               // 000000007F9C: 7F5411AA
	v_cvt_i32_f32_e32 v171, v171                               // 000000007FA0: 7F5611AB
	v_perm_b32 v138, v169, v168, s53                           // 000000007FA4: D1ED008A 00D751A9
	v_perm_b32 v138, v170, v138, s54                           // 000000007FAC: D1ED008A 00DB15AA
	v_perm_b32 v138, v171, v138, s55                           // 000000007FB4: D1ED008A 00DF15AB
	v_mul_f32_e32 v172, v23, v172                              // 000000007FBC: 0B595917
	v_mul_f32_e32 v173, v23, v173                              // 000000007FC0: 0B5B5B17
	v_mul_f32_e32 v174, v23, v174                              // 000000007FC4: 0B5D5D17
	v_mul_f32_e32 v175, v23, v175                              // 000000007FC8: 0B5F5F17
	v_cvt_i32_f32_e32 v172, v172                               // 000000007FCC: 7F5811AC
	v_cvt_i32_f32_e32 v173, v173                               // 000000007FD0: 7F5A11AD
	v_cvt_i32_f32_e32 v174, v174                               // 000000007FD4: 7F5C11AE
	v_cvt_i32_f32_e32 v175, v175                               // 000000007FD8: 7F5E11AF
	v_perm_b32 v139, v173, v172, s53                           // 000000007FDC: D1ED008B 00D759AD
	v_perm_b32 v139, v174, v139, s54                           // 000000007FE4: D1ED008B 00DB17AE
	v_perm_b32 v139, v175, v139, s55                           // 000000007FEC: D1ED008B 00DF17AF
	v_rcp_f32_e32 v24, v22                                     // 000000007FF4: 7E304516
	v_rcp_f32_e32 v25, v23                                     // 000000007FF8: 7E324517
	v_lshrrev_b32_e32 v48, 5, v0                               // 000000007FFC: 20600085
	v_lshlrev_b32_e32 v49, 5, v48                              // 000000008000: 24626085
	v_and_b32_e32 v48, 31, v0                                  // 000000008004: 2660009F
	v_lshrrev_b32_e32 v50, 4, v48                              // 000000008008: 20646084
	v_add_u32_e32 v49, v50, v49                                // 00000000800C: 68626332
	v_and_b32_e32 v48, 15, v0                                  // 000000008010: 2660008F
	v_lshlrev_b32_e32 v48, 1, v48                              // 000000008014: 24606081
	v_add_u32_e32 v49, v48, v49                                // 000000008018: 68626330
	v_lshlrev_b32_e32 v48, 2, v49                              // 00000000801C: 24606282
	s_mul_i32 s60, 0x100, s7                                   // 000000008020: 923C07FF 00000100
	v_add_u32_e64 v48, v48, s60                                // 000000008028: D1340030 00007930
	ds_write_b32 v48, v128 offset:18688                        // 000000008030: D81A4900 00008030
	ds_write_b32 v48, v129 offset:24832                        // 000000008038: D81A6100 00008130
	ds_write_b32 v48, v130 offset:19712                        // 000000008040: D81A4D00 00008230
	ds_write_b32 v48, v131 offset:25856                        // 000000008048: D81A6500 00008330
	ds_write_b32 v48, v132 offset:20736                        // 000000008050: D81A5100 00008430
	ds_write_b32 v48, v133 offset:26880                        // 000000008058: D81A6900 00008530
	ds_write_b32 v48, v134 offset:21760                        // 000000008060: D81A5500 00008630
	ds_write_b32 v48, v135 offset:27904                        // 000000008068: D81A6D00 00008730
	ds_write_b32 v48, v136 offset:22784                        // 000000008070: D81A5900 00008830
	ds_write_b32 v48, v137 offset:28928                        // 000000008078: D81A7100 00008930
	ds_write_b32 v48, v138 offset:23808                        // 000000008080: D81A5D00 00008A30
	ds_write_b32 v48, v139 offset:29952                        // 000000008088: D81A7500 00008B30
	s_waitcnt lgkmcnt(0)                                       // 000000008090: BF8CC07F
	s_barrier                                                  // 000000008094: BF8A0000
	v_lshrrev_b32_e32 v48, 4, v0                               // 000000008098: 20600084
	v_lshlrev_b32_e32 v49, 6, v48                              // 00000000809C: 24626086
	v_and_b32_e32 v48, 15, v0                                  // 0000000080A0: 2660008F
	v_lshlrev_b32_e32 v48, 1, v48                              // 0000000080A4: 24606081
	v_add_u32_e32 v49, v48, v49                                // 0000000080A8: 68626330
	v_lshlrev_b32_e32 v48, 2, v49                              // 0000000080AC: 24606282
	ds_read_b64 v[128:129], v48 offset:18688                   // 0000000080B0: D8EC4900 80000030
	ds_read_b64 v[130:131], v48 offset:18816                   // 0000000080B8: D8EC4980 82000030
	ds_read_b64 v[132:133], v48 offset:19712                   // 0000000080C0: D8EC4D00 84000030
	ds_read_b64 v[134:135], v48 offset:19840                   // 0000000080C8: D8EC4D80 86000030
	ds_read_b64 v[136:137], v48 offset:20736                   // 0000000080D0: D8EC5100 88000030
	ds_read_b64 v[138:139], v48 offset:20864                   // 0000000080D8: D8EC5180 8A000030
	ds_read_b64 v[140:141], v48 offset:21760                   // 0000000080E0: D8EC5500 8C000030
	ds_read_b64 v[142:143], v48 offset:21888                   // 0000000080E8: D8EC5580 8E000030
	ds_read_b64 v[144:145], v48 offset:22784                   // 0000000080F0: D8EC5900 90000030
	ds_read_b64 v[146:147], v48 offset:22912                   // 0000000080F8: D8EC5980 92000030
	ds_read_b64 v[148:149], v48 offset:23808                   // 000000008100: D8EC5D00 94000030
	ds_read_b64 v[150:151], v48 offset:23936                   // 000000008108: D8EC5D80 96000030
	ds_read_b64 v[152:153], v48 offset:24832                   // 000000008110: D8EC6100 98000030
	ds_read_b64 v[154:155], v48 offset:24960                   // 000000008118: D8EC6180 9A000030
	ds_read_b64 v[156:157], v48 offset:25856                   // 000000008120: D8EC6500 9C000030
	ds_read_b64 v[158:159], v48 offset:25984                   // 000000008128: D8EC6580 9E000030
	ds_read_b64 v[160:161], v48 offset:26880                   // 000000008130: D8EC6900 A0000030
	ds_read_b64 v[162:163], v48 offset:27008                   // 000000008138: D8EC6980 A2000030
	ds_read_b64 v[164:165], v48 offset:27904                   // 000000008140: D8EC6D00 A4000030
	ds_read_b64 v[166:167], v48 offset:28032                   // 000000008148: D8EC6D80 A6000030
	ds_read_b64 v[168:169], v48 offset:28928                   // 000000008150: D8EC7100 A8000030
	ds_read_b64 v[170:171], v48 offset:29056                   // 000000008158: D8EC7180 AA000030
	ds_read_b64 v[172:173], v48 offset:29952                   // 000000008160: D8EC7500 AC000030
	ds_read_b64 v[174:175], v48 offset:30080                   // 000000008168: D8EC7580 AE000030
	s_add_u32 s12, s56, s12                                    // 000000008170: 800C0C38
	s_addc_u32 s13, 0, s13                                     // 000000008174: 820D0D80
	s_add_u32 s16, s79, s16                                    // 000000008178: 8010104F
	s_addc_u32 s17, 0, s17                                     // 00000000817C: 82111180
	s_mov_b32 s80, 0                                           // 000000008180: BED00080
	s_waitcnt vmcnt(0) expcnt(0) lgkmcnt(0)                    // 000000008184: BF8C0000

0000000000008188 <label_14E2>:
	s_waitcnt vmcnt(37)                                        // 000000008188: BF8C8F75
	s_barrier                                                  // 00000000818C: BF8A0000
	v_mfma_i32_16x16x32_i8 v[176:179], a[0:1], v[128:129], 0   // 000000008190: D3D700B0 0A030100
	buffer_load_dwordx4 a[96:99], v40, s[12:15], 0 offen       // 000000008198: E05C1000 80836028
	v_mfma_i32_16x16x32_i8 v[176:179], a[2:3], v[130:131], v[176:179]// 0000000081A0: D3D700B0 0EC30502
	v_mfma_i32_16x16x32_i8 v[180:183], a[0:1], v[152:153], 0   // 0000000081A8: D3D700B4 0A033100
	v_mfma_i32_16x16x32_i8 v[180:183], a[2:3], v[154:155], v[180:183]// 0000000081B0: D3D700B4 0ED33502
	v_mfma_i32_16x16x32_i8 v[184:187], a[4:5], v[128:129], 0   // 0000000081B8: D3D700B8 0A030104
	buffer_load_dwordx4 a[100:103], v41, s[12:15], 0 offen     // 0000000081C0: E05C1000 80836429
	v_mfma_i32_16x16x32_i8 v[184:187], a[6:7], v[130:131], v[184:187]// 0000000081C8: D3D700B8 0EE30506
	v_mfma_i32_16x16x32_i8 v[188:191], a[4:5], v[152:153], 0   // 0000000081D0: D3D700BC 0A033104
	v_mfma_i32_16x16x32_i8 v[188:191], a[6:7], v[154:155], v[188:191]// 0000000081D8: D3D700BC 0EF33506
	v_mfma_i32_16x16x32_i8 v[192:195], a[8:9], v[128:129], 0   // 0000000081E0: D3D700C0 0A030108
	buffer_load_dwordx4 a[104:107], v42, s[12:15], 0 offen     // 0000000081E8: E05C1000 8083682A
	v_mfma_i32_16x16x32_i8 v[192:195], a[10:11], v[130:131], v[192:195]// 0000000081F0: D3D700C0 0F03050A
	v_mfma_i32_16x16x32_i8 v[196:199], a[8:9], v[152:153], 0   // 0000000081F8: D3D700C4 0A033108
	v_mfma_i32_16x16x32_i8 v[196:199], a[10:11], v[154:155], v[196:199]// 000000008200: D3D700C4 0F13350A
	v_mfma_i32_16x16x32_i8 v[200:203], a[12:13], v[128:129], 0 // 000000008208: D3D700C8 0A03010C
	buffer_load_dwordx4 a[108:111], v43, s[12:15], 0 offen     // 000000008210: E05C1000 80836C2B
	s_add_u32 s12, s78, s12                                    // 000000008218: 800C0C4E
	s_addc_u32 s13, 0, s13                                     // 00000000821C: 820D0D80
	v_mfma_i32_16x16x32_i8 v[200:203], a[14:15], v[130:131], v[200:203]// 000000008220: D3D700C8 0F23050E
	v_mfma_i32_16x16x32_i8 v[204:207], a[12:13], v[152:153], 0 // 000000008228: D3D700CC 0A03310C
	v_mfma_i32_16x16x32_i8 v[204:207], a[14:15], v[154:155], v[204:207]// 000000008230: D3D700CC 0F33350E
	s_waitcnt vmcnt(37)                                        // 000000008238: BF8C8F75
	v_mfma_i32_16x16x32_i8 v[176:179], a[16:17], v[132:133], v[176:179]// 00000000823C: D3D700B0 0EC30910
	buffer_load_dwordx4 a[112:115], v40, s[12:15], 0 offen     // 000000008244: E05C1000 80837028
	v_mfma_i32_16x16x32_i8 v[176:179], a[18:19], v[134:135], v[176:179]// 00000000824C: D3D700B0 0EC30D12
	v_mfma_i32_16x16x32_i8 v[180:183], a[16:17], v[156:157], v[180:183]// 000000008254: D3D700B4 0ED33910
	v_mfma_i32_16x16x32_i8 v[180:183], a[18:19], v[158:159], v[180:183]// 00000000825C: D3D700B4 0ED33D12
	v_mfma_i32_16x16x32_i8 v[184:187], a[20:21], v[132:133], v[184:187]// 000000008264: D3D700B8 0EE30914
	buffer_load_dwordx4 a[116:119], v41, s[12:15], 0 offen     // 00000000826C: E05C1000 80837429
	v_mfma_i32_16x16x32_i8 v[184:187], a[22:23], v[134:135], v[184:187]// 000000008274: D3D700B8 0EE30D16
	v_mfma_i32_16x16x32_i8 v[188:191], a[20:21], v[156:157], v[188:191]// 00000000827C: D3D700BC 0EF33914
	v_mfma_i32_16x16x32_i8 v[188:191], a[22:23], v[158:159], v[188:191]// 000000008284: D3D700BC 0EF33D16
	v_mfma_i32_16x16x32_i8 v[192:195], a[24:25], v[132:133], v[192:195]// 00000000828C: D3D700C0 0F030918
	buffer_load_dwordx4 a[120:123], v42, s[12:15], 0 offen     // 000000008294: E05C1000 8083782A
	v_mfma_i32_16x16x32_i8 v[192:195], a[26:27], v[134:135], v[192:195]// 00000000829C: D3D700C0 0F030D1A
	v_mfma_i32_16x16x32_i8 v[196:199], a[24:25], v[156:157], v[196:199]// 0000000082A4: D3D700C4 0F133918
	v_mfma_i32_16x16x32_i8 v[196:199], a[26:27], v[158:159], v[196:199]// 0000000082AC: D3D700C4 0F133D1A
	v_mfma_i32_16x16x32_i8 v[200:203], a[28:29], v[132:133], v[200:203]// 0000000082B4: D3D700C8 0F23091C
	buffer_load_dwordx4 a[124:127], v43, s[12:15], 0 offen     // 0000000082BC: E05C1000 80837C2B
	s_add_u32 s12, s78, s12                                    // 0000000082C4: 800C0C4E
	s_addc_u32 s13, 0, s13                                     // 0000000082C8: 820D0D80
	v_mfma_i32_16x16x32_i8 v[200:203], a[30:31], v[134:135], v[200:203]// 0000000082CC: D3D700C8 0F230D1E
	v_mfma_i32_16x16x32_i8 v[204:207], a[28:29], v[156:157], v[204:207]// 0000000082D4: D3D700CC 0F33391C
	v_mfma_i32_16x16x32_i8 v[204:207], a[30:31], v[158:159], v[204:207]// 0000000082DC: D3D700CC 0F333D1E
	s_waitcnt vmcnt(37)                                        // 0000000082E4: BF8C8F75
	v_mfma_i32_16x16x32_i8 v[176:179], a[32:33], v[136:137], v[176:179]// 0000000082E8: D3D700B0 0EC31120
	buffer_load_dwordx4 a[128:131], v40, s[12:15], 0 offen     // 0000000082F0: E05C1000 80838028
	v_mfma_i32_16x16x32_i8 v[176:179], a[34:35], v[138:139], v[176:179]// 0000000082F8: D3D700B0 0EC31522
	v_mfma_i32_16x16x32_i8 v[180:183], a[32:33], v[160:161], v[180:183]// 000000008300: D3D700B4 0ED34120
	v_mfma_i32_16x16x32_i8 v[180:183], a[34:35], v[162:163], v[180:183]// 000000008308: D3D700B4 0ED34522
	v_mfma_i32_16x16x32_i8 v[184:187], a[36:37], v[136:137], v[184:187]// 000000008310: D3D700B8 0EE31124
	buffer_load_dwordx4 a[132:135], v41, s[12:15], 0 offen     // 000000008318: E05C1000 80838429
	v_mfma_i32_16x16x32_i8 v[184:187], a[38:39], v[138:139], v[184:187]// 000000008320: D3D700B8 0EE31526
	v_mfma_i32_16x16x32_i8 v[188:191], a[36:37], v[160:161], v[188:191]// 000000008328: D3D700BC 0EF34124
	v_mfma_i32_16x16x32_i8 v[188:191], a[38:39], v[162:163], v[188:191]// 000000008330: D3D700BC 0EF34526
	v_mfma_i32_16x16x32_i8 v[192:195], a[40:41], v[136:137], v[192:195]// 000000008338: D3D700C0 0F031128
	buffer_load_dwordx4 a[136:139], v42, s[12:15], 0 offen     // 000000008340: E05C1000 8083882A
	v_mfma_i32_16x16x32_i8 v[192:195], a[42:43], v[138:139], v[192:195]// 000000008348: D3D700C0 0F03152A
	v_mfma_i32_16x16x32_i8 v[196:199], a[40:41], v[160:161], v[196:199]// 000000008350: D3D700C4 0F134128
	v_mfma_i32_16x16x32_i8 v[196:199], a[42:43], v[162:163], v[196:199]// 000000008358: D3D700C4 0F13452A
	v_mfma_i32_16x16x32_i8 v[200:203], a[44:45], v[136:137], v[200:203]// 000000008360: D3D700C8 0F23112C
	buffer_load_dwordx4 a[140:143], v43, s[12:15], 0 offen     // 000000008368: E05C1000 80838C2B
	s_add_u32 s12, s78, s12                                    // 000000008370: 800C0C4E
	s_addc_u32 s13, 0, s13                                     // 000000008374: 820D0D80
	v_mfma_i32_16x16x32_i8 v[200:203], a[46:47], v[138:139], v[200:203]// 000000008378: D3D700C8 0F23152E
	v_mfma_i32_16x16x32_i8 v[204:207], a[44:45], v[160:161], v[204:207]// 000000008380: D3D700CC 0F33412C
	v_mfma_i32_16x16x32_i8 v[204:207], a[46:47], v[162:163], v[204:207]// 000000008388: D3D700CC 0F33452E
	s_waitcnt vmcnt(37)                                        // 000000008390: BF8C8F75
	v_mfma_i32_16x16x32_i8 v[176:179], a[48:49], v[140:141], v[176:179]// 000000008394: D3D700B0 0EC31930
	buffer_load_dwordx4 a[144:147], v40, s[12:15], 0 offen     // 00000000839C: E05C1000 80839028
	v_mfma_i32_16x16x32_i8 v[176:179], a[50:51], v[142:143], v[176:179]// 0000000083A4: D3D700B0 0EC31D32
	v_mfma_i32_16x16x32_i8 v[180:183], a[48:49], v[164:165], v[180:183]// 0000000083AC: D3D700B4 0ED34930
	v_mfma_i32_16x16x32_i8 v[180:183], a[50:51], v[166:167], v[180:183]// 0000000083B4: D3D700B4 0ED34D32
	v_mfma_i32_16x16x32_i8 v[184:187], a[52:53], v[140:141], v[184:187]// 0000000083BC: D3D700B8 0EE31934
	buffer_load_dwordx4 a[148:151], v41, s[12:15], 0 offen     // 0000000083C4: E05C1000 80839429
	v_mfma_i32_16x16x32_i8 v[184:187], a[54:55], v[142:143], v[184:187]// 0000000083CC: D3D700B8 0EE31D36
	v_mfma_i32_16x16x32_i8 v[188:191], a[52:53], v[164:165], v[188:191]// 0000000083D4: D3D700BC 0EF34934
	v_mfma_i32_16x16x32_i8 v[188:191], a[54:55], v[166:167], v[188:191]// 0000000083DC: D3D700BC 0EF34D36
	v_mfma_i32_16x16x32_i8 v[192:195], a[56:57], v[140:141], v[192:195]// 0000000083E4: D3D700C0 0F031938
	buffer_load_dwordx4 a[152:155], v42, s[12:15], 0 offen     // 0000000083EC: E05C1000 8083982A
	v_mfma_i32_16x16x32_i8 v[192:195], a[58:59], v[142:143], v[192:195]// 0000000083F4: D3D700C0 0F031D3A
	v_mfma_i32_16x16x32_i8 v[196:199], a[56:57], v[164:165], v[196:199]// 0000000083FC: D3D700C4 0F134938
	v_mfma_i32_16x16x32_i8 v[196:199], a[58:59], v[166:167], v[196:199]// 000000008404: D3D700C4 0F134D3A
	v_mfma_i32_16x16x32_i8 v[200:203], a[60:61], v[140:141], v[200:203]// 00000000840C: D3D700C8 0F23193C
	buffer_load_dwordx4 a[156:159], v43, s[12:15], 0 offen     // 000000008414: E05C1000 80839C2B
	s_add_u32 s12, s78, s12                                    // 00000000841C: 800C0C4E
	s_addc_u32 s13, 0, s13                                     // 000000008420: 820D0D80
	v_mfma_i32_16x16x32_i8 v[200:203], a[62:63], v[142:143], v[200:203]// 000000008424: D3D700C8 0F231D3E
	v_mfma_i32_16x16x32_i8 v[204:207], a[60:61], v[164:165], v[204:207]// 00000000842C: D3D700CC 0F33493C
	v_mfma_i32_16x16x32_i8 v[204:207], a[62:63], v[166:167], v[204:207]// 000000008434: D3D700CC 0F334D3E
	s_waitcnt vmcnt(37)                                        // 00000000843C: BF8C8F75
	v_mfma_i32_16x16x32_i8 v[176:179], a[64:65], v[144:145], v[176:179]// 000000008440: D3D700B0 0EC32140
	buffer_load_dwordx4 a[160:163], v40, s[12:15], 0 offen     // 000000008448: E05C1000 8083A028
	v_mfma_i32_16x16x32_i8 v[176:179], a[66:67], v[146:147], v[176:179]// 000000008450: D3D700B0 0EC32542
	v_mfma_i32_16x16x32_i8 v[180:183], a[64:65], v[168:169], v[180:183]// 000000008458: D3D700B4 0ED35140
	v_mfma_i32_16x16x32_i8 v[180:183], a[66:67], v[170:171], v[180:183]// 000000008460: D3D700B4 0ED35542
	v_mfma_i32_16x16x32_i8 v[184:187], a[68:69], v[144:145], v[184:187]// 000000008468: D3D700B8 0EE32144
	buffer_load_dwordx4 a[164:167], v41, s[12:15], 0 offen     // 000000008470: E05C1000 8083A429
	v_mfma_i32_16x16x32_i8 v[184:187], a[70:71], v[146:147], v[184:187]// 000000008478: D3D700B8 0EE32546
	v_mfma_i32_16x16x32_i8 v[188:191], a[68:69], v[168:169], v[188:191]// 000000008480: D3D700BC 0EF35144
	v_mfma_i32_16x16x32_i8 v[188:191], a[70:71], v[170:171], v[188:191]// 000000008488: D3D700BC 0EF35546
	v_mfma_i32_16x16x32_i8 v[192:195], a[72:73], v[144:145], v[192:195]// 000000008490: D3D700C0 0F032148
	buffer_load_dwordx4 a[168:171], v42, s[12:15], 0 offen     // 000000008498: E05C1000 8083A82A
	v_mfma_i32_16x16x32_i8 v[192:195], a[74:75], v[146:147], v[192:195]// 0000000084A0: D3D700C0 0F03254A
	v_mfma_i32_16x16x32_i8 v[196:199], a[72:73], v[168:169], v[196:199]// 0000000084A8: D3D700C4 0F135148
	v_mfma_i32_16x16x32_i8 v[196:199], a[74:75], v[170:171], v[196:199]// 0000000084B0: D3D700C4 0F13554A
	v_mfma_i32_16x16x32_i8 v[200:203], a[76:77], v[144:145], v[200:203]// 0000000084B8: D3D700C8 0F23214C
	buffer_load_dwordx4 a[172:175], v43, s[12:15], 0 offen     // 0000000084C0: E05C1000 8083AC2B
	s_add_u32 s12, s78, s12                                    // 0000000084C8: 800C0C4E
	s_addc_u32 s13, 0, s13                                     // 0000000084CC: 820D0D80
	v_mfma_i32_16x16x32_i8 v[200:203], a[78:79], v[146:147], v[200:203]// 0000000084D0: D3D700C8 0F23254E
	v_mfma_i32_16x16x32_i8 v[204:207], a[76:77], v[168:169], v[204:207]// 0000000084D8: D3D700CC 0F33514C
	v_mfma_i32_16x16x32_i8 v[204:207], a[78:79], v[170:171], v[204:207]// 0000000084E0: D3D700CC 0F33554E
	s_waitcnt vmcnt(36)                                        // 0000000084E8: BF8C8F74
	v_mfma_i32_16x16x32_i8 v[176:179], a[80:81], v[148:149], v[176:179]// 0000000084EC: D3D700B0 0EC32950
	buffer_load_dwordx4 a[176:179], v40, s[12:15], 0 offen     // 0000000084F4: E05C1000 8083B028
	v_mfma_i32_16x16x32_i8 v[176:179], a[82:83], v[150:151], v[176:179]// 0000000084FC: D3D700B0 0EC32D52
	v_mfma_i32_16x16x32_i8 v[180:183], a[80:81], v[172:173], v[180:183]// 000000008504: D3D700B4 0ED35950
	buffer_load_dword v13, v5, s[16:19], 0 offen               // 00000000850C: E0501000 80040D05
	v_mfma_i32_16x16x32_i8 v[180:183], a[82:83], v[174:175], v[180:183]// 000000008514: D3D700B4 0ED35D52
	v_mfma_i32_16x16x32_i8 v[184:187], a[84:85], v[148:149], v[184:187]// 00000000851C: D3D700B8 0EE32954
	buffer_load_dwordx4 a[180:183], v41, s[12:15], 0 offen     // 000000008524: E05C1000 8083B429
	v_mfma_i32_16x16x32_i8 v[184:187], a[86:87], v[150:151], v[184:187]// 00000000852C: D3D700B8 0EE32D56
	v_mfma_i32_16x16x32_i8 v[188:191], a[84:85], v[172:173], v[188:191]// 000000008534: D3D700BC 0EF35954
	v_mfma_i32_16x16x32_i8 v[188:191], a[86:87], v[174:175], v[188:191]// 00000000853C: D3D700BC 0EF35D56
	v_mfma_i32_16x16x32_i8 v[192:195], a[88:89], v[148:149], v[192:195]// 000000008544: D3D700C0 0F032958
	buffer_load_dwordx4 a[184:187], v42, s[12:15], 0 offen     // 00000000854C: E05C1000 8083B82A
	v_mfma_i32_16x16x32_i8 v[192:195], a[90:91], v[150:151], v[192:195]// 000000008554: D3D700C0 0F032D5A
	v_mfma_i32_16x16x32_i8 v[196:199], a[88:89], v[172:173], v[196:199]// 00000000855C: D3D700C4 0F135958
	v_mfma_i32_16x16x32_i8 v[196:199], a[90:91], v[174:175], v[196:199]// 000000008564: D3D700C4 0F135D5A
	v_mfma_i32_16x16x32_i8 v[200:203], a[92:93], v[148:149], v[200:203]// 00000000856C: D3D700C8 0F23295C
	buffer_load_dwordx4 a[188:191], v43, s[12:15], 0 offen     // 000000008574: E05C1000 8083BC2B
	v_mfma_i32_16x16x32_i8 v[200:203], a[94:95], v[150:151], v[200:203]// 00000000857C: D3D700C8 0F232D5E
	v_mfma_i32_16x16x32_i8 v[204:207], a[92:93], v[172:173], v[204:207]// 000000008584: D3D700CC 0F33595C
	v_mfma_i32_16x16x32_i8 v[204:207], a[94:95], v[174:175], v[204:207]// 00000000858C: D3D700CC 0F335D5E
	s_add_u32 s60, 0x200, s80                                  // 000000008594: 803C50FF 00000200
	s_cmp_lt_u32 s60, s81                                      // 00000000859C: BF0A513C
	s_cselect_b32 s56, s56, 0                                  // 0000000085A0: 85388038
	s_cselect_b32 s78, s78, 0                                  // 0000000085A4: 854E804E
	s_cselect_b32 s79, s79, 0                                  // 0000000085A8: 854F804F
	s_add_u32 s12, s56, s12                                    // 0000000085AC: 800C0C38
	s_addc_u32 s13, 0, s13                                     // 0000000085B0: 820D0D80
	s_add_u32 s16, s79, s16                                    // 0000000085B4: 8010104F
	s_addc_u32 s17, 0, s17                                     // 0000000085B8: 82111180
	v_cvt_f32_i32_e32 v176, v176                               // 0000000085BC: 7F600BB0
	v_cvt_f32_i32_e32 v177, v177                               // 0000000085C0: 7F620BB1
	v_cvt_f32_i32_e32 v178, v178                               // 0000000085C4: 7F640BB2
	v_cvt_f32_i32_e32 v179, v179                               // 0000000085C8: 7F660BB3
	v_mul_f32_e32 v176, v24, v176                              // 0000000085CC: 0B616118
	v_mul_f32_e32 v177, v24, v177                              // 0000000085D0: 0B636318
	v_mul_f32_e32 v178, v24, v178                              // 0000000085D4: 0B656518
	v_mul_f32_e32 v179, v24, v179                              // 0000000085D8: 0B676718
	v_mul_f32_dpp v176, v12, v176 row_newbcast:0 row_mask:0xf bank_mask:0xf// 0000000085DC: 0B6160FA FF01500C
	v_mul_f32_dpp v177, v12, v177 row_newbcast:1 row_mask:0xf bank_mask:0xf// 0000000085E4: 0B6362FA FF01510C
	v_mul_f32_dpp v178, v12, v178 row_newbcast:2 row_mask:0xf bank_mask:0xf// 0000000085EC: 0B6564FA FF01520C
	v_mul_f32_dpp v179, v12, v179 row_newbcast:3 row_mask:0xf bank_mask:0xf// 0000000085F4: 0B6766FA FF01530C
	v_mul_f32_e32 v176, v20, v176                              // 0000000085FC: 0B616114
	v_mul_f32_e32 v177, v20, v177                              // 000000008600: 0B636314
	v_mul_f32_e32 v178, v20, v178                              // 000000008604: 0B656514
	v_mul_f32_e32 v179, v20, v179                              // 000000008608: 0B676714
	v_cvt_f32_i32_e32 v180, v180                               // 00000000860C: 7F680BB4
	v_cvt_f32_i32_e32 v181, v181                               // 000000008610: 7F6A0BB5
	v_cvt_f32_i32_e32 v182, v182                               // 000000008614: 7F6C0BB6
	v_cvt_f32_i32_e32 v183, v183                               // 000000008618: 7F6E0BB7
	v_mul_f32_e32 v180, v25, v180                              // 00000000861C: 0B696919
	v_mul_f32_e32 v181, v25, v181                              // 000000008620: 0B6B6B19
	v_mul_f32_e32 v182, v25, v182                              // 000000008624: 0B6D6D19
	v_mul_f32_e32 v183, v25, v183                              // 000000008628: 0B6F6F19
	v_mul_f32_dpp v180, v12, v180 row_newbcast:0 row_mask:0xf bank_mask:0xf// 00000000862C: 0B6968FA FF01500C
	v_mul_f32_dpp v181, v12, v181 row_newbcast:1 row_mask:0xf bank_mask:0xf// 000000008634: 0B6B6AFA FF01510C
	v_mul_f32_dpp v182, v12, v182 row_newbcast:2 row_mask:0xf bank_mask:0xf// 00000000863C: 0B6D6CFA FF01520C
	v_mul_f32_dpp v183, v12, v183 row_newbcast:3 row_mask:0xf bank_mask:0xf// 000000008644: 0B6F6EFA FF01530C
	v_mul_f32_e32 v180, v21, v180                              // 00000000864C: 0B696915
	v_mul_f32_e32 v181, v21, v181                              // 000000008650: 0B6B6B15
	v_mul_f32_e32 v182, v21, v182                              // 000000008654: 0B6D6D15
	v_mul_f32_e32 v183, v21, v183                              // 000000008658: 0B6F6F15
	v_cvt_f32_i32_e32 v184, v184                               // 00000000865C: 7F700BB8
	v_cvt_f32_i32_e32 v185, v185                               // 000000008660: 7F720BB9
	v_cvt_f32_i32_e32 v186, v186                               // 000000008664: 7F740BBA
	v_cvt_f32_i32_e32 v187, v187                               // 000000008668: 7F760BBB
	v_mul_f32_e32 v184, v24, v184                              // 00000000866C: 0B717118
	v_mul_f32_e32 v185, v24, v185                              // 000000008670: 0B737318
	v_mul_f32_e32 v186, v24, v186                              // 000000008674: 0B757518
	v_mul_f32_e32 v187, v24, v187                              // 000000008678: 0B777718
	v_mul_f32_dpp v184, v12, v184 row_newbcast:4 row_mask:0xf bank_mask:0xf// 00000000867C: 0B7170FA FF01540C
	v_mul_f32_dpp v185, v12, v185 row_newbcast:5 row_mask:0xf bank_mask:0xf// 000000008684: 0B7372FA FF01550C
	v_mul_f32_dpp v186, v12, v186 row_newbcast:6 row_mask:0xf bank_mask:0xf// 00000000868C: 0B7574FA FF01560C
	v_mul_f32_dpp v187, v12, v187 row_newbcast:7 row_mask:0xf bank_mask:0xf// 000000008694: 0B7776FA FF01570C
	v_mul_f32_e32 v184, v20, v184                              // 00000000869C: 0B717114
	v_mul_f32_e32 v185, v20, v185                              // 0000000086A0: 0B737314
	v_mul_f32_e32 v186, v20, v186                              // 0000000086A4: 0B757514
	v_mul_f32_e32 v187, v20, v187                              // 0000000086A8: 0B777714
	v_cvt_f32_i32_e32 v188, v188                               // 0000000086AC: 7F780BBC
	v_cvt_f32_i32_e32 v189, v189                               // 0000000086B0: 7F7A0BBD
	v_cvt_f32_i32_e32 v190, v190                               // 0000000086B4: 7F7C0BBE
	v_cvt_f32_i32_e32 v191, v191                               // 0000000086B8: 7F7E0BBF
	v_mul_f32_e32 v188, v25, v188                              // 0000000086BC: 0B797919
	v_mul_f32_e32 v189, v25, v189                              // 0000000086C0: 0B7B7B19
	v_mul_f32_e32 v190, v25, v190                              // 0000000086C4: 0B7D7D19
	v_mul_f32_e32 v191, v25, v191                              // 0000000086C8: 0B7F7F19
	v_mul_f32_dpp v188, v12, v188 row_newbcast:4 row_mask:0xf bank_mask:0xf// 0000000086CC: 0B7978FA FF01540C
	v_mul_f32_dpp v189, v12, v189 row_newbcast:5 row_mask:0xf bank_mask:0xf// 0000000086D4: 0B7B7AFA FF01550C
	v_mul_f32_dpp v190, v12, v190 row_newbcast:6 row_mask:0xf bank_mask:0xf// 0000000086DC: 0B7D7CFA FF01560C
	v_mul_f32_dpp v191, v12, v191 row_newbcast:7 row_mask:0xf bank_mask:0xf// 0000000086E4: 0B7F7EFA FF01570C
	v_mul_f32_e32 v188, v21, v188                              // 0000000086EC: 0B797915
	v_mul_f32_e32 v189, v21, v189                              // 0000000086F0: 0B7B7B15
	v_mul_f32_e32 v190, v21, v190                              // 0000000086F4: 0B7D7D15
	v_mul_f32_e32 v191, v21, v191                              // 0000000086F8: 0B7F7F15
	v_cvt_f32_i32_e32 v192, v192                               // 0000000086FC: 7F800BC0
	v_cvt_f32_i32_e32 v193, v193                               // 000000008700: 7F820BC1
	v_cvt_f32_i32_e32 v194, v194                               // 000000008704: 7F840BC2
	v_cvt_f32_i32_e32 v195, v195                               // 000000008708: 7F860BC3
	v_mul_f32_e32 v192, v24, v192                              // 00000000870C: 0B818118
	v_mul_f32_e32 v193, v24, v193                              // 000000008710: 0B838318
	v_mul_f32_e32 v194, v24, v194                              // 000000008714: 0B858518
	v_mul_f32_e32 v195, v24, v195                              // 000000008718: 0B878718
	v_mul_f32_dpp v192, v12, v192 row_newbcast:8 row_mask:0xf bank_mask:0xf// 00000000871C: 0B8180FA FF01580C
	v_mul_f32_dpp v193, v12, v193 row_newbcast:9 row_mask:0xf bank_mask:0xf// 000000008724: 0B8382FA FF01590C
	v_mul_f32_dpp v194, v12, v194 row_newbcast:10 row_mask:0xf bank_mask:0xf// 00000000872C: 0B8584FA FF015A0C
	v_mul_f32_dpp v195, v12, v195 row_newbcast:11 row_mask:0xf bank_mask:0xf// 000000008734: 0B8786FA FF015B0C
	v_mul_f32_e32 v192, v20, v192                              // 00000000873C: 0B818114
	v_mul_f32_e32 v193, v20, v193                              // 000000008740: 0B838314
	v_mul_f32_e32 v194, v20, v194                              // 000000008744: 0B858514
	v_mul_f32_e32 v195, v20, v195                              // 000000008748: 0B878714
	v_cvt_f32_i32_e32 v196, v196                               // 00000000874C: 7F880BC4
	v_cvt_f32_i32_e32 v197, v197                               // 000000008750: 7F8A0BC5
	v_cvt_f32_i32_e32 v198, v198                               // 000000008754: 7F8C0BC6
	v_cvt_f32_i32_e32 v199, v199                               // 000000008758: 7F8E0BC7
	v_mul_f32_e32 v196, v25, v196                              // 00000000875C: 0B898919
	v_mul_f32_e32 v197, v25, v197                              // 000000008760: 0B8B8B19
	v_mul_f32_e32 v198, v25, v198                              // 000000008764: 0B8D8D19
	v_mul_f32_e32 v199, v25, v199                              // 000000008768: 0B8F8F19
	v_mul_f32_dpp v196, v12, v196 row_newbcast:8 row_mask:0xf bank_mask:0xf// 00000000876C: 0B8988FA FF01580C
	v_mul_f32_dpp v197, v12, v197 row_newbcast:9 row_mask:0xf bank_mask:0xf// 000000008774: 0B8B8AFA FF01590C
	v_mul_f32_dpp v198, v12, v198 row_newbcast:10 row_mask:0xf bank_mask:0xf// 00000000877C: 0B8D8CFA FF015A0C
	v_mul_f32_dpp v199, v12, v199 row_newbcast:11 row_mask:0xf bank_mask:0xf// 000000008784: 0B8F8EFA FF015B0C
	v_mul_f32_e32 v196, v21, v196                              // 00000000878C: 0B898915
	v_mul_f32_e32 v197, v21, v197                              // 000000008790: 0B8B8B15
	v_mul_f32_e32 v198, v21, v198                              // 000000008794: 0B8D8D15
	v_mul_f32_e32 v199, v21, v199                              // 000000008798: 0B8F8F15
	v_cvt_f32_i32_e32 v200, v200                               // 00000000879C: 7F900BC8
	v_cvt_f32_i32_e32 v201, v201                               // 0000000087A0: 7F920BC9
	v_cvt_f32_i32_e32 v202, v202                               // 0000000087A4: 7F940BCA
	v_cvt_f32_i32_e32 v203, v203                               // 0000000087A8: 7F960BCB
	v_mul_f32_e32 v200, v24, v200                              // 0000000087AC: 0B919118
	v_mul_f32_e32 v201, v24, v201                              // 0000000087B0: 0B939318
	v_mul_f32_e32 v202, v24, v202                              // 0000000087B4: 0B959518
	v_mul_f32_e32 v203, v24, v203                              // 0000000087B8: 0B979718
	v_mul_f32_dpp v200, v12, v200 row_newbcast:12 row_mask:0xf bank_mask:0xf// 0000000087BC: 0B9190FA FF015C0C
	v_mul_f32_dpp v201, v12, v201 row_newbcast:13 row_mask:0xf bank_mask:0xf// 0000000087C4: 0B9392FA FF015D0C
	v_mul_f32_dpp v202, v12, v202 row_newbcast:14 row_mask:0xf bank_mask:0xf// 0000000087CC: 0B9594FA FF015E0C
	v_mul_f32_dpp v203, v12, v203 row_newbcast:15 row_mask:0xf bank_mask:0xf// 0000000087D4: 0B9796FA FF015F0C
	v_mul_f32_e32 v200, v20, v200                              // 0000000087DC: 0B919114
	v_mul_f32_e32 v201, v20, v201                              // 0000000087E0: 0B939314
	v_mul_f32_e32 v202, v20, v202                              // 0000000087E4: 0B959514
	v_mul_f32_e32 v203, v20, v203                              // 0000000087E8: 0B979714
	v_cvt_f32_i32_e32 v204, v204                               // 0000000087EC: 7F980BCC
	v_cvt_f32_i32_e32 v205, v205                               // 0000000087F0: 7F9A0BCD
	v_cvt_f32_i32_e32 v206, v206                               // 0000000087F4: 7F9C0BCE
	v_cvt_f32_i32_e32 v207, v207                               // 0000000087F8: 7F9E0BCF
	v_mul_f32_e32 v204, v25, v204                              // 0000000087FC: 0B999919
	v_mul_f32_e32 v205, v25, v205                              // 000000008800: 0B9B9B19
	v_mul_f32_e32 v206, v25, v206                              // 000000008804: 0B9D9D19
	v_mul_f32_e32 v207, v25, v207                              // 000000008808: 0B9F9F19
	v_mul_f32_dpp v204, v12, v204 row_newbcast:12 row_mask:0xf bank_mask:0xf// 00000000880C: 0B9998FA FF015C0C
	v_mul_f32_dpp v205, v12, v205 row_newbcast:13 row_mask:0xf bank_mask:0xf// 000000008814: 0B9B9AFA FF015D0C
	v_mul_f32_dpp v206, v12, v206 row_newbcast:14 row_mask:0xf bank_mask:0xf// 00000000881C: 0B9D9CFA FF015E0C
	v_mul_f32_dpp v207, v12, v207 row_newbcast:15 row_mask:0xf bank_mask:0xf// 000000008824: 0B9F9EFA FF015F0C
	v_mul_f32_e32 v204, v21, v204                              // 00000000882C: 0B999915
	v_mul_f32_e32 v205, v21, v205                              // 000000008830: 0B9B9B15
	v_mul_f32_e32 v206, v21, v206                              // 000000008834: 0B9D9D15
	v_mul_f32_e32 v207, v21, v207                              // 000000008838: 0B9F9F15
	v_cvt_pkrtz_f16_f32 v176, v176, v177                       // 00000000883C: D29600B0 000363B0
	v_cvt_pkrtz_f16_f32 v177, v178, v179                       // 000000008844: D29600B1 000367B2
	v_cvt_pkrtz_f16_f32 v178, v180, v181                       // 00000000884C: D29600B2 00036BB4
	v_cvt_pkrtz_f16_f32 v179, v182, v183                       // 000000008854: D29600B3 00036FB6
	v_cvt_pkrtz_f16_f32 v180, v184, v185                       // 00000000885C: D29600B4 000373B8
	v_cvt_pkrtz_f16_f32 v181, v186, v187                       // 000000008864: D29600B5 000377BA
	v_cvt_pkrtz_f16_f32 v182, v188, v189                       // 00000000886C: D29600B6 00037BBC
	v_cvt_pkrtz_f16_f32 v183, v190, v191                       // 000000008874: D29600B7 00037FBE
	v_cvt_pkrtz_f16_f32 v184, v192, v193                       // 00000000887C: D29600B8 000383C0
	v_cvt_pkrtz_f16_f32 v185, v194, v195                       // 000000008884: D29600B9 000387C2
	v_cvt_pkrtz_f16_f32 v186, v196, v197                       // 00000000888C: D29600BA 00038BC4
	v_cvt_pkrtz_f16_f32 v187, v198, v199                       // 000000008894: D29600BB 00038FC6
	v_cvt_pkrtz_f16_f32 v188, v200, v201                       // 00000000889C: D29600BC 000393C8
	v_cvt_pkrtz_f16_f32 v189, v202, v203                       // 0000000088A4: D29600BD 000397CA
	v_cvt_pkrtz_f16_f32 v190, v204, v205                       // 0000000088AC: D29600BE 00039BCC
	v_cvt_pkrtz_f16_f32 v191, v206, v207                       // 0000000088B4: D29600BF 00039FCE
	ds_write_b64 v3, v[176:177] offset:30976                   // 0000000088BC: D89A7900 0000B003
	ds_write_b64 v3, v[178:179] offset:39680                   // 0000000088C4: D89A9B00 0000B203
	ds_write_b64 v3, v[180:181] offset:33152                   // 0000000088CC: D89A8180 0000B403
	ds_write_b64 v3, v[182:183] offset:41856                   // 0000000088D4: D89AA380 0000B603
	ds_write_b64 v3, v[184:185] offset:35328                   // 0000000088DC: D89A8A00 0000B803
	ds_write_b64 v3, v[186:187] offset:44032                   // 0000000088E4: D89AAC00 0000BA03
	ds_write_b64 v3, v[188:189] offset:37504                   // 0000000088EC: D89A9280 0000BC03
	ds_write_b64 v3, v[190:191] offset:46208                   // 0000000088F4: D89AB480 0000BE03
	s_waitcnt lgkmcnt(0)                                       // 0000000088FC: BF8CC07F
	s_barrier                                                  // 000000008900: BF8A0000
	ds_read_b32 v64, v4 offset:30976                           // 000000008904: D86C7900 40000004
	ds_read_b32 v65, v4 offset:35328                           // 00000000890C: D86C8A00 41000004
	ds_read_b32 v66, v4 offset:31008                           // 000000008914: D86C7920 42000004
	ds_read_b32 v67, v4 offset:35360                           // 00000000891C: D86C8A20 43000004
	ds_read_b32 v68, v4 offset:31040                           // 000000008924: D86C7940 44000004
	ds_read_b32 v69, v4 offset:35392                           // 00000000892C: D86C8A40 45000004
	ds_read_b32 v70, v4 offset:31072                           // 000000008934: D86C7960 46000004
	ds_read_b32 v71, v4 offset:35424                           // 00000000893C: D86C8A60 47000004
	ds_read_b32 v72, v4 offset:39680                           // 000000008944: D86C9B00 48000004
	ds_read_b32 v73, v4 offset:44032                           // 00000000894C: D86CAC00 49000004
	ds_read_b32 v74, v4 offset:39712                           // 000000008954: D86C9B20 4A000004
	ds_read_b32 v75, v4 offset:44064                           // 00000000895C: D86CAC20 4B000004
	ds_read_b32 v76, v4 offset:39744                           // 000000008964: D86C9B40 4C000004
	ds_read_b32 v77, v4 offset:44096                           // 00000000896C: D86CAC40 4D000004
	ds_read_b32 v78, v4 offset:39776                           // 000000008974: D86C9B60 4E000004
	ds_read_b32 v79, v4 offset:44128                           // 00000000897C: D86CAC60 4F000004
	s_waitcnt lgkmcnt(0)                                       // 000000008984: BF8CC07F
	s_mov_b64 exec, s[20:21]                                   // 000000008988: BEFE0114
	global_atomic_pk_add_f16 v80, v64, s[8:9]                  // 00000000898C: DD388000 00084050
	s_mov_b64 exec, s[36:37]                                   // 000000008994: BEFE0124
	s_mov_b64 exec, s[20:21]                                   // 000000008998: BEFE0114
	global_atomic_pk_add_f16 v80, v65, s[8:9] offset:256       // 00000000899C: DD388100 00084150
	s_mov_b64 exec, s[36:37]                                   // 0000000089A4: BEFE0124
	s_mov_b64 exec, s[22:23]                                   // 0000000089A8: BEFE0116
	global_atomic_pk_add_f16 v82, v66, s[8:9]                  // 0000000089AC: DD388000 00084252
	s_mov_b64 exec, s[36:37]                                   // 0000000089B4: BEFE0124
	s_mov_b64 exec, s[22:23]                                   // 0000000089B8: BEFE0116
	global_atomic_pk_add_f16 v82, v67, s[8:9] offset:256       // 0000000089BC: DD388100 00084352
	s_mov_b64 exec, s[36:37]                                   // 0000000089C4: BEFE0124
	s_mov_b64 exec, s[24:25]                                   // 0000000089C8: BEFE0118
	global_atomic_pk_add_f16 v84, v68, s[8:9]                  // 0000000089CC: DD388000 00084454
	s_mov_b64 exec, s[36:37]                                   // 0000000089D4: BEFE0124
	s_mov_b64 exec, s[24:25]                                   // 0000000089D8: BEFE0118
	global_atomic_pk_add_f16 v84, v69, s[8:9] offset:256       // 0000000089DC: DD388100 00084554
	s_mov_b64 exec, s[36:37]                                   // 0000000089E4: BEFE0124
	s_mov_b64 exec, s[26:27]                                   // 0000000089E8: BEFE011A
	global_atomic_pk_add_f16 v86, v70, s[8:9]                  // 0000000089EC: DD388000 00084656
	s_mov_b64 exec, s[36:37]                                   // 0000000089F4: BEFE0124
	s_mov_b64 exec, s[26:27]                                   // 0000000089F8: BEFE011A
	global_atomic_pk_add_f16 v86, v71, s[8:9] offset:256       // 0000000089FC: DD388100 00084756
	s_mov_b64 exec, s[36:37]                                   // 000000008A04: BEFE0124
	s_mov_b64 exec, s[28:29]                                   // 000000008A08: BEFE011C
	global_atomic_pk_add_f16 v88, v72, s[8:9]                  // 000000008A0C: DD388000 00084858
	s_mov_b64 exec, s[36:37]                                   // 000000008A14: BEFE0124
	s_mov_b64 exec, s[28:29]                                   // 000000008A18: BEFE011C
	global_atomic_pk_add_f16 v88, v73, s[8:9] offset:256       // 000000008A1C: DD388100 00084958
	s_mov_b64 exec, s[36:37]                                   // 000000008A24: BEFE0124
	s_mov_b64 exec, s[30:31]                                   // 000000008A28: BEFE011E
	global_atomic_pk_add_f16 v90, v74, s[8:9]                  // 000000008A2C: DD388000 00084A5A
	s_mov_b64 exec, s[36:37]                                   // 000000008A34: BEFE0124
	s_mov_b64 exec, s[30:31]                                   // 000000008A38: BEFE011E
	global_atomic_pk_add_f16 v90, v75, s[8:9] offset:256       // 000000008A3C: DD388100 00084B5A
	s_mov_b64 exec, s[36:37]                                   // 000000008A44: BEFE0124
	s_mov_b64 exec, s[32:33]                                   // 000000008A48: BEFE0120
	global_atomic_pk_add_f16 v92, v76, s[8:9]                  // 000000008A4C: DD388000 00084C5C
	s_mov_b64 exec, s[36:37]                                   // 000000008A54: BEFE0124
	s_mov_b64 exec, s[32:33]                                   // 000000008A58: BEFE0120
	global_atomic_pk_add_f16 v92, v77, s[8:9] offset:256       // 000000008A5C: DD388100 00084D5C
	s_mov_b64 exec, s[36:37]                                   // 000000008A64: BEFE0124
	s_mov_b64 exec, s[34:35]                                   // 000000008A68: BEFE0122
	global_atomic_pk_add_f16 v94, v78, s[8:9]                  // 000000008A6C: DD388000 00084E5E
	s_mov_b64 exec, s[36:37]                                   // 000000008A74: BEFE0124
	s_mov_b64 exec, s[34:35]                                   // 000000008A78: BEFE0122
	global_atomic_pk_add_f16 v94, v79, s[8:9] offset:256       // 000000008A7C: DD388100 00084F5E
	s_mov_b64 exec, s[36:37]                                   // 000000008A84: BEFE0124
	s_add_u32 s8, s59, s8                                      // 000000008A88: 8008083B
	s_addc_u32 s9, 0, s9                                       // 000000008A8C: 82090980
	s_addk_i32 s80, 0x100                                      // 000000008A90: B7500100
	s_cmp_lt_i32 s80, s81                                      // 000000008A94: BF045150
	s_cbranch_scc0 label_0E1F                                  // 000000008A98: BF84F6F8
	s_waitcnt vmcnt(37)                                        // 000000008A9C: BF8C8F75
	s_barrier                                                  // 000000008AA0: BF8A0000
	v_mfma_i32_16x16x32_i8 v[208:211], a[96:97], v[128:129], 0 // 000000008AA4: D3D700D0 0A030160
	buffer_load_dwordx4 a[0:3], v40, s[12:15], 0 offen         // 000000008AAC: E05C1000 80830028
	v_mfma_i32_16x16x32_i8 v[208:211], a[98:99], v[130:131], v[208:211]// 000000008AB4: D3D700D0 0F430562
	v_mfma_i32_16x16x32_i8 v[212:215], a[96:97], v[152:153], 0 // 000000008ABC: D3D700D4 0A033160
	v_mfma_i32_16x16x32_i8 v[212:215], a[98:99], v[154:155], v[212:215]// 000000008AC4: D3D700D4 0F533562
	v_mfma_i32_16x16x32_i8 v[216:219], a[100:101], v[128:129], 0// 000000008ACC: D3D700D8 0A030164
	buffer_load_dwordx4 a[4:7], v41, s[12:15], 0 offen         // 000000008AD4: E05C1000 80830429
	v_mfma_i32_16x16x32_i8 v[216:219], a[102:103], v[130:131], v[216:219]// 000000008ADC: D3D700D8 0F630566
	v_mfma_i32_16x16x32_i8 v[220:223], a[100:101], v[152:153], 0// 000000008AE4: D3D700DC 0A033164
	v_mfma_i32_16x16x32_i8 v[220:223], a[102:103], v[154:155], v[220:223]// 000000008AEC: D3D700DC 0F733566
	v_mfma_i32_16x16x32_i8 v[224:227], a[104:105], v[128:129], 0// 000000008AF4: D3D700E0 0A030168
	buffer_load_dwordx4 a[8:11], v42, s[12:15], 0 offen        // 000000008AFC: E05C1000 8083082A
	v_mfma_i32_16x16x32_i8 v[224:227], a[106:107], v[130:131], v[224:227]// 000000008B04: D3D700E0 0F83056A
	v_mfma_i32_16x16x32_i8 v[228:231], a[104:105], v[152:153], 0// 000000008B0C: D3D700E4 0A033168
	v_mfma_i32_16x16x32_i8 v[228:231], a[106:107], v[154:155], v[228:231]// 000000008B14: D3D700E4 0F93356A
	v_mfma_i32_16x16x32_i8 v[232:235], a[108:109], v[128:129], 0// 000000008B1C: D3D700E8 0A03016C
	buffer_load_dwordx4 a[12:15], v43, s[12:15], 0 offen       // 000000008B24: E05C1000 80830C2B
	s_add_u32 s12, s78, s12                                    // 000000008B2C: 800C0C4E
	s_addc_u32 s13, 0, s13                                     // 000000008B30: 820D0D80
	v_mfma_i32_16x16x32_i8 v[232:235], a[110:111], v[130:131], v[232:235]// 000000008B34: D3D700E8 0FA3056E
	v_mfma_i32_16x16x32_i8 v[236:239], a[108:109], v[152:153], 0// 000000008B3C: D3D700EC 0A03316C
	v_mfma_i32_16x16x32_i8 v[236:239], a[110:111], v[154:155], v[236:239]// 000000008B44: D3D700EC 0FB3356E
	s_waitcnt vmcnt(37)                                        // 000000008B4C: BF8C8F75
	v_mfma_i32_16x16x32_i8 v[208:211], a[112:113], v[132:133], v[208:211]// 000000008B50: D3D700D0 0F430970
	buffer_load_dwordx4 a[16:19], v40, s[12:15], 0 offen       // 000000008B58: E05C1000 80831028
	v_mfma_i32_16x16x32_i8 v[208:211], a[114:115], v[134:135], v[208:211]// 000000008B60: D3D700D0 0F430D72
	v_mfma_i32_16x16x32_i8 v[212:215], a[112:113], v[156:157], v[212:215]// 000000008B68: D3D700D4 0F533970
	v_mfma_i32_16x16x32_i8 v[212:215], a[114:115], v[158:159], v[212:215]// 000000008B70: D3D700D4 0F533D72
	v_mfma_i32_16x16x32_i8 v[216:219], a[116:117], v[132:133], v[216:219]// 000000008B78: D3D700D8 0F630974
	buffer_load_dwordx4 a[20:23], v41, s[12:15], 0 offen       // 000000008B80: E05C1000 80831429
	v_mfma_i32_16x16x32_i8 v[216:219], a[118:119], v[134:135], v[216:219]// 000000008B88: D3D700D8 0F630D76
	v_mfma_i32_16x16x32_i8 v[220:223], a[116:117], v[156:157], v[220:223]// 000000008B90: D3D700DC 0F733974
	v_mfma_i32_16x16x32_i8 v[220:223], a[118:119], v[158:159], v[220:223]// 000000008B98: D3D700DC 0F733D76
	v_mfma_i32_16x16x32_i8 v[224:227], a[120:121], v[132:133], v[224:227]// 000000008BA0: D3D700E0 0F830978
	buffer_load_dwordx4 a[24:27], v42, s[12:15], 0 offen       // 000000008BA8: E05C1000 8083182A
	v_mfma_i32_16x16x32_i8 v[224:227], a[122:123], v[134:135], v[224:227]// 000000008BB0: D3D700E0 0F830D7A
	v_mfma_i32_16x16x32_i8 v[228:231], a[120:121], v[156:157], v[228:231]// 000000008BB8: D3D700E4 0F933978
	v_mfma_i32_16x16x32_i8 v[228:231], a[122:123], v[158:159], v[228:231]// 000000008BC0: D3D700E4 0F933D7A
	v_mfma_i32_16x16x32_i8 v[232:235], a[124:125], v[132:133], v[232:235]// 000000008BC8: D3D700E8 0FA3097C
	buffer_load_dwordx4 a[28:31], v43, s[12:15], 0 offen       // 000000008BD0: E05C1000 80831C2B
	s_add_u32 s12, s78, s12                                    // 000000008BD8: 800C0C4E
	s_addc_u32 s13, 0, s13                                     // 000000008BDC: 820D0D80
	v_mfma_i32_16x16x32_i8 v[232:235], a[126:127], v[134:135], v[232:235]// 000000008BE0: D3D700E8 0FA30D7E
	v_mfma_i32_16x16x32_i8 v[236:239], a[124:125], v[156:157], v[236:239]// 000000008BE8: D3D700EC 0FB3397C
	v_mfma_i32_16x16x32_i8 v[236:239], a[126:127], v[158:159], v[236:239]// 000000008BF0: D3D700EC 0FB33D7E
	s_waitcnt vmcnt(37)                                        // 000000008BF8: BF8C8F75
	v_mfma_i32_16x16x32_i8 v[208:211], a[128:129], v[136:137], v[208:211]// 000000008BFC: D3D700D0 0F431180
	buffer_load_dwordx4 a[32:35], v40, s[12:15], 0 offen       // 000000008C04: E05C1000 80832028
	v_mfma_i32_16x16x32_i8 v[208:211], a[130:131], v[138:139], v[208:211]// 000000008C0C: D3D700D0 0F431582
	v_mfma_i32_16x16x32_i8 v[212:215], a[128:129], v[160:161], v[212:215]// 000000008C14: D3D700D4 0F534180
	v_mfma_i32_16x16x32_i8 v[212:215], a[130:131], v[162:163], v[212:215]// 000000008C1C: D3D700D4 0F534582
	v_mfma_i32_16x16x32_i8 v[216:219], a[132:133], v[136:137], v[216:219]// 000000008C24: D3D700D8 0F631184
	buffer_load_dwordx4 a[36:39], v41, s[12:15], 0 offen       // 000000008C2C: E05C1000 80832429
	v_mfma_i32_16x16x32_i8 v[216:219], a[134:135], v[138:139], v[216:219]// 000000008C34: D3D700D8 0F631586
	v_mfma_i32_16x16x32_i8 v[220:223], a[132:133], v[160:161], v[220:223]// 000000008C3C: D3D700DC 0F734184
	v_mfma_i32_16x16x32_i8 v[220:223], a[134:135], v[162:163], v[220:223]// 000000008C44: D3D700DC 0F734586
	v_mfma_i32_16x16x32_i8 v[224:227], a[136:137], v[136:137], v[224:227]// 000000008C4C: D3D700E0 0F831188
	buffer_load_dwordx4 a[40:43], v42, s[12:15], 0 offen       // 000000008C54: E05C1000 8083282A
	v_mfma_i32_16x16x32_i8 v[224:227], a[138:139], v[138:139], v[224:227]// 000000008C5C: D3D700E0 0F83158A
	v_mfma_i32_16x16x32_i8 v[228:231], a[136:137], v[160:161], v[228:231]// 000000008C64: D3D700E4 0F934188
	v_mfma_i32_16x16x32_i8 v[228:231], a[138:139], v[162:163], v[228:231]// 000000008C6C: D3D700E4 0F93458A
	v_mfma_i32_16x16x32_i8 v[232:235], a[140:141], v[136:137], v[232:235]// 000000008C74: D3D700E8 0FA3118C
	buffer_load_dwordx4 a[44:47], v43, s[12:15], 0 offen       // 000000008C7C: E05C1000 80832C2B
	s_add_u32 s12, s78, s12                                    // 000000008C84: 800C0C4E
	s_addc_u32 s13, 0, s13                                     // 000000008C88: 820D0D80
	v_mfma_i32_16x16x32_i8 v[232:235], a[142:143], v[138:139], v[232:235]// 000000008C8C: D3D700E8 0FA3158E
	v_mfma_i32_16x16x32_i8 v[236:239], a[140:141], v[160:161], v[236:239]// 000000008C94: D3D700EC 0FB3418C
	v_mfma_i32_16x16x32_i8 v[236:239], a[142:143], v[162:163], v[236:239]// 000000008C9C: D3D700EC 0FB3458E
	s_waitcnt vmcnt(37)                                        // 000000008CA4: BF8C8F75
	v_mfma_i32_16x16x32_i8 v[208:211], a[144:145], v[140:141], v[208:211]// 000000008CA8: D3D700D0 0F431990
	buffer_load_dwordx4 a[48:51], v40, s[12:15], 0 offen       // 000000008CB0: E05C1000 80833028
	v_mfma_i32_16x16x32_i8 v[208:211], a[146:147], v[142:143], v[208:211]// 000000008CB8: D3D700D0 0F431D92
	v_mfma_i32_16x16x32_i8 v[212:215], a[144:145], v[164:165], v[212:215]// 000000008CC0: D3D700D4 0F534990
	v_mfma_i32_16x16x32_i8 v[212:215], a[146:147], v[166:167], v[212:215]// 000000008CC8: D3D700D4 0F534D92
	v_mfma_i32_16x16x32_i8 v[216:219], a[148:149], v[140:141], v[216:219]// 000000008CD0: D3D700D8 0F631994
	buffer_load_dwordx4 a[52:55], v41, s[12:15], 0 offen       // 000000008CD8: E05C1000 80833429
	v_mfma_i32_16x16x32_i8 v[216:219], a[150:151], v[142:143], v[216:219]// 000000008CE0: D3D700D8 0F631D96
	v_mfma_i32_16x16x32_i8 v[220:223], a[148:149], v[164:165], v[220:223]// 000000008CE8: D3D700DC 0F734994
	v_mfma_i32_16x16x32_i8 v[220:223], a[150:151], v[166:167], v[220:223]// 000000008CF0: D3D700DC 0F734D96
	v_mfma_i32_16x16x32_i8 v[224:227], a[152:153], v[140:141], v[224:227]// 000000008CF8: D3D700E0 0F831998
	buffer_load_dwordx4 a[56:59], v42, s[12:15], 0 offen       // 000000008D00: E05C1000 8083382A
	v_mfma_i32_16x16x32_i8 v[224:227], a[154:155], v[142:143], v[224:227]// 000000008D08: D3D700E0 0F831D9A
	v_mfma_i32_16x16x32_i8 v[228:231], a[152:153], v[164:165], v[228:231]// 000000008D10: D3D700E4 0F934998
	v_mfma_i32_16x16x32_i8 v[228:231], a[154:155], v[166:167], v[228:231]// 000000008D18: D3D700E4 0F934D9A
	v_mfma_i32_16x16x32_i8 v[232:235], a[156:157], v[140:141], v[232:235]// 000000008D20: D3D700E8 0FA3199C
	buffer_load_dwordx4 a[60:63], v43, s[12:15], 0 offen       // 000000008D28: E05C1000 80833C2B
	s_add_u32 s12, s78, s12                                    // 000000008D30: 800C0C4E
	s_addc_u32 s13, 0, s13                                     // 000000008D34: 820D0D80
	v_mfma_i32_16x16x32_i8 v[232:235], a[158:159], v[142:143], v[232:235]// 000000008D38: D3D700E8 0FA31D9E
	v_mfma_i32_16x16x32_i8 v[236:239], a[156:157], v[164:165], v[236:239]// 000000008D40: D3D700EC 0FB3499C
	v_mfma_i32_16x16x32_i8 v[236:239], a[158:159], v[166:167], v[236:239]// 000000008D48: D3D700EC 0FB34D9E
	s_waitcnt vmcnt(37)                                        // 000000008D50: BF8C8F75
	v_mfma_i32_16x16x32_i8 v[208:211], a[160:161], v[144:145], v[208:211]// 000000008D54: D3D700D0 0F4321A0
	buffer_load_dwordx4 a[64:67], v40, s[12:15], 0 offen       // 000000008D5C: E05C1000 80834028
	v_mfma_i32_16x16x32_i8 v[208:211], a[162:163], v[146:147], v[208:211]// 000000008D64: D3D700D0 0F4325A2
	v_mfma_i32_16x16x32_i8 v[212:215], a[160:161], v[168:169], v[212:215]// 000000008D6C: D3D700D4 0F5351A0
	v_mfma_i32_16x16x32_i8 v[212:215], a[162:163], v[170:171], v[212:215]// 000000008D74: D3D700D4 0F5355A2
	v_mfma_i32_16x16x32_i8 v[216:219], a[164:165], v[144:145], v[216:219]// 000000008D7C: D3D700D8 0F6321A4
	buffer_load_dwordx4 a[68:71], v41, s[12:15], 0 offen       // 000000008D84: E05C1000 80834429
	v_mfma_i32_16x16x32_i8 v[216:219], a[166:167], v[146:147], v[216:219]// 000000008D8C: D3D700D8 0F6325A6
	v_mfma_i32_16x16x32_i8 v[220:223], a[164:165], v[168:169], v[220:223]// 000000008D94: D3D700DC 0F7351A4
	v_mfma_i32_16x16x32_i8 v[220:223], a[166:167], v[170:171], v[220:223]// 000000008D9C: D3D700DC 0F7355A6
	v_mfma_i32_16x16x32_i8 v[224:227], a[168:169], v[144:145], v[224:227]// 000000008DA4: D3D700E0 0F8321A8
	buffer_load_dwordx4 a[72:75], v42, s[12:15], 0 offen       // 000000008DAC: E05C1000 8083482A
	v_mfma_i32_16x16x32_i8 v[224:227], a[170:171], v[146:147], v[224:227]// 000000008DB4: D3D700E0 0F8325AA
	v_mfma_i32_16x16x32_i8 v[228:231], a[168:169], v[168:169], v[228:231]// 000000008DBC: D3D700E4 0F9351A8
	v_mfma_i32_16x16x32_i8 v[228:231], a[170:171], v[170:171], v[228:231]// 000000008DC4: D3D700E4 0F9355AA
	v_mfma_i32_16x16x32_i8 v[232:235], a[172:173], v[144:145], v[232:235]// 000000008DCC: D3D700E8 0FA321AC
	buffer_load_dwordx4 a[76:79], v43, s[12:15], 0 offen       // 000000008DD4: E05C1000 80834C2B
	s_add_u32 s12, s78, s12                                    // 000000008DDC: 800C0C4E
	s_addc_u32 s13, 0, s13                                     // 000000008DE0: 820D0D80
	v_mfma_i32_16x16x32_i8 v[232:235], a[174:175], v[146:147], v[232:235]// 000000008DE4: D3D700E8 0FA325AE
	v_mfma_i32_16x16x32_i8 v[236:239], a[172:173], v[168:169], v[236:239]// 000000008DEC: D3D700EC 0FB351AC
	v_mfma_i32_16x16x32_i8 v[236:239], a[174:175], v[170:171], v[236:239]// 000000008DF4: D3D700EC 0FB355AE
	s_waitcnt vmcnt(36)                                        // 000000008DFC: BF8C8F74
	v_mfma_i32_16x16x32_i8 v[208:211], a[176:177], v[148:149], v[208:211]// 000000008E00: D3D700D0 0F4329B0
	buffer_load_dwordx4 a[80:83], v40, s[12:15], 0 offen       // 000000008E08: E05C1000 80835028
	v_mfma_i32_16x16x32_i8 v[208:211], a[178:179], v[150:151], v[208:211]// 000000008E10: D3D700D0 0F432DB2
	v_mfma_i32_16x16x32_i8 v[212:215], a[176:177], v[172:173], v[212:215]// 000000008E18: D3D700D4 0F5359B0
	buffer_load_dword v12, v5, s[16:19], 0 offen               // 000000008E20: E0501000 80040C05
	v_mfma_i32_16x16x32_i8 v[212:215], a[178:179], v[174:175], v[212:215]// 000000008E28: D3D700D4 0F535DB2
	v_mfma_i32_16x16x32_i8 v[216:219], a[180:181], v[148:149], v[216:219]// 000000008E30: D3D700D8 0F6329B4
	buffer_load_dwordx4 a[84:87], v41, s[12:15], 0 offen       // 000000008E38: E05C1000 80835429
	v_mfma_i32_16x16x32_i8 v[216:219], a[182:183], v[150:151], v[216:219]// 000000008E40: D3D700D8 0F632DB6
	v_mfma_i32_16x16x32_i8 v[220:223], a[180:181], v[172:173], v[220:223]// 000000008E48: D3D700DC 0F7359B4
	v_mfma_i32_16x16x32_i8 v[220:223], a[182:183], v[174:175], v[220:223]// 000000008E50: D3D700DC 0F735DB6
	v_mfma_i32_16x16x32_i8 v[224:227], a[184:185], v[148:149], v[224:227]// 000000008E58: D3D700E0 0F8329B8
	buffer_load_dwordx4 a[88:91], v42, s[12:15], 0 offen       // 000000008E60: E05C1000 8083582A
	v_mfma_i32_16x16x32_i8 v[224:227], a[186:187], v[150:151], v[224:227]// 000000008E68: D3D700E0 0F832DBA
	v_mfma_i32_16x16x32_i8 v[228:231], a[184:185], v[172:173], v[228:231]// 000000008E70: D3D700E4 0F9359B8
	v_mfma_i32_16x16x32_i8 v[228:231], a[186:187], v[174:175], v[228:231]// 000000008E78: D3D700E4 0F935DBA
	v_mfma_i32_16x16x32_i8 v[232:235], a[188:189], v[148:149], v[232:235]// 000000008E80: D3D700E8 0FA329BC
	buffer_load_dwordx4 a[92:95], v43, s[12:15], 0 offen       // 000000008E88: E05C1000 80835C2B
	v_mfma_i32_16x16x32_i8 v[232:235], a[190:191], v[150:151], v[232:235]// 000000008E90: D3D700E8 0FA32DBE
	v_mfma_i32_16x16x32_i8 v[236:239], a[188:189], v[172:173], v[236:239]// 000000008E98: D3D700EC 0FB359BC
	v_mfma_i32_16x16x32_i8 v[236:239], a[190:191], v[174:175], v[236:239]// 000000008EA0: D3D700EC 0FB35DBE
	s_add_u32 s60, 0x200, s80                                  // 000000008EA8: 803C50FF 00000200
	s_cmp_lt_u32 s60, s81                                      // 000000008EB0: BF0A513C
	s_cselect_b32 s56, s56, 0                                  // 000000008EB4: 85388038
	s_cselect_b32 s78, s78, 0                                  // 000000008EB8: 854E804E
	s_cselect_b32 s79, s79, 0                                  // 000000008EBC: 854F804F
	s_add_u32 s12, s56, s12                                    // 000000008EC0: 800C0C38
	s_addc_u32 s13, 0, s13                                     // 000000008EC4: 820D0D80
	s_add_u32 s16, s79, s16                                    // 000000008EC8: 8010104F
	s_addc_u32 s17, 0, s17                                     // 000000008ECC: 82111180
	v_cvt_f32_i32_e32 v208, v208                               // 000000008ED0: 7FA00BD0
	v_cvt_f32_i32_e32 v209, v209                               // 000000008ED4: 7FA20BD1
	v_cvt_f32_i32_e32 v210, v210                               // 000000008ED8: 7FA40BD2
	v_cvt_f32_i32_e32 v211, v211                               // 000000008EDC: 7FA60BD3
	v_mul_f32_e32 v208, v24, v208                              // 000000008EE0: 0BA1A118
	v_mul_f32_e32 v209, v24, v209                              // 000000008EE4: 0BA3A318
	v_mul_f32_e32 v210, v24, v210                              // 000000008EE8: 0BA5A518
	v_mul_f32_e32 v211, v24, v211                              // 000000008EEC: 0BA7A718
	v_mul_f32_dpp v208, v13, v208 row_newbcast:0 row_mask:0xf bank_mask:0xf// 000000008EF0: 0BA1A0FA FF01500D
	v_mul_f32_dpp v209, v13, v209 row_newbcast:1 row_mask:0xf bank_mask:0xf// 000000008EF8: 0BA3A2FA FF01510D
	v_mul_f32_dpp v210, v13, v210 row_newbcast:2 row_mask:0xf bank_mask:0xf// 000000008F00: 0BA5A4FA FF01520D
	v_mul_f32_dpp v211, v13, v211 row_newbcast:3 row_mask:0xf bank_mask:0xf// 000000008F08: 0BA7A6FA FF01530D
	v_mul_f32_e32 v208, v20, v208                              // 000000008F10: 0BA1A114
	v_mul_f32_e32 v209, v20, v209                              // 000000008F14: 0BA3A314
	v_mul_f32_e32 v210, v20, v210                              // 000000008F18: 0BA5A514
	v_mul_f32_e32 v211, v20, v211                              // 000000008F1C: 0BA7A714
	v_cvt_f32_i32_e32 v212, v212                               // 000000008F20: 7FA80BD4
	v_cvt_f32_i32_e32 v213, v213                               // 000000008F24: 7FAA0BD5
	v_cvt_f32_i32_e32 v214, v214                               // 000000008F28: 7FAC0BD6
	v_cvt_f32_i32_e32 v215, v215                               // 000000008F2C: 7FAE0BD7
	v_mul_f32_e32 v212, v25, v212                              // 000000008F30: 0BA9A919
	v_mul_f32_e32 v213, v25, v213                              // 000000008F34: 0BABAB19
	v_mul_f32_e32 v214, v25, v214                              // 000000008F38: 0BADAD19
	v_mul_f32_e32 v215, v25, v215                              // 000000008F3C: 0BAFAF19
	v_mul_f32_dpp v212, v13, v212 row_newbcast:0 row_mask:0xf bank_mask:0xf// 000000008F40: 0BA9A8FA FF01500D
	v_mul_f32_dpp v213, v13, v213 row_newbcast:1 row_mask:0xf bank_mask:0xf// 000000008F48: 0BABAAFA FF01510D
	v_mul_f32_dpp v214, v13, v214 row_newbcast:2 row_mask:0xf bank_mask:0xf// 000000008F50: 0BADACFA FF01520D
	v_mul_f32_dpp v215, v13, v215 row_newbcast:3 row_mask:0xf bank_mask:0xf// 000000008F58: 0BAFAEFA FF01530D
	v_mul_f32_e32 v212, v21, v212                              // 000000008F60: 0BA9A915
	v_mul_f32_e32 v213, v21, v213                              // 000000008F64: 0BABAB15
	v_mul_f32_e32 v214, v21, v214                              // 000000008F68: 0BADAD15
	v_mul_f32_e32 v215, v21, v215                              // 000000008F6C: 0BAFAF15
	v_cvt_f32_i32_e32 v216, v216                               // 000000008F70: 7FB00BD8
	v_cvt_f32_i32_e32 v217, v217                               // 000000008F74: 7FB20BD9
	v_cvt_f32_i32_e32 v218, v218                               // 000000008F78: 7FB40BDA
	v_cvt_f32_i32_e32 v219, v219                               // 000000008F7C: 7FB60BDB
	v_mul_f32_e32 v216, v24, v216                              // 000000008F80: 0BB1B118
	v_mul_f32_e32 v217, v24, v217                              // 000000008F84: 0BB3B318
	v_mul_f32_e32 v218, v24, v218                              // 000000008F88: 0BB5B518
	v_mul_f32_e32 v219, v24, v219                              // 000000008F8C: 0BB7B718
	v_mul_f32_dpp v216, v13, v216 row_newbcast:4 row_mask:0xf bank_mask:0xf// 000000008F90: 0BB1B0FA FF01540D
	v_mul_f32_dpp v217, v13, v217 row_newbcast:5 row_mask:0xf bank_mask:0xf// 000000008F98: 0BB3B2FA FF01550D
	v_mul_f32_dpp v218, v13, v218 row_newbcast:6 row_mask:0xf bank_mask:0xf// 000000008FA0: 0BB5B4FA FF01560D
	v_mul_f32_dpp v219, v13, v219 row_newbcast:7 row_mask:0xf bank_mask:0xf// 000000008FA8: 0BB7B6FA FF01570D
	v_mul_f32_e32 v216, v20, v216                              // 000000008FB0: 0BB1B114
	v_mul_f32_e32 v217, v20, v217                              // 000000008FB4: 0BB3B314
	v_mul_f32_e32 v218, v20, v218                              // 000000008FB8: 0BB5B514
	v_mul_f32_e32 v219, v20, v219                              // 000000008FBC: 0BB7B714
	v_cvt_f32_i32_e32 v220, v220                               // 000000008FC0: 7FB80BDC
	v_cvt_f32_i32_e32 v221, v221                               // 000000008FC4: 7FBA0BDD
	v_cvt_f32_i32_e32 v222, v222                               // 000000008FC8: 7FBC0BDE
	v_cvt_f32_i32_e32 v223, v223                               // 000000008FCC: 7FBE0BDF
	v_mul_f32_e32 v220, v25, v220                              // 000000008FD0: 0BB9B919
	v_mul_f32_e32 v221, v25, v221                              // 000000008FD4: 0BBBBB19
	v_mul_f32_e32 v222, v25, v222                              // 000000008FD8: 0BBDBD19
	v_mul_f32_e32 v223, v25, v223                              // 000000008FDC: 0BBFBF19
	v_mul_f32_dpp v220, v13, v220 row_newbcast:4 row_mask:0xf bank_mask:0xf// 000000008FE0: 0BB9B8FA FF01540D
	v_mul_f32_dpp v221, v13, v221 row_newbcast:5 row_mask:0xf bank_mask:0xf// 000000008FE8: 0BBBBAFA FF01550D
	v_mul_f32_dpp v222, v13, v222 row_newbcast:6 row_mask:0xf bank_mask:0xf// 000000008FF0: 0BBDBCFA FF01560D
	v_mul_f32_dpp v223, v13, v223 row_newbcast:7 row_mask:0xf bank_mask:0xf// 000000008FF8: 0BBFBEFA FF01570D
	v_mul_f32_e32 v220, v21, v220                              // 000000009000: 0BB9B915
	v_mul_f32_e32 v221, v21, v221                              // 000000009004: 0BBBBB15
	v_mul_f32_e32 v222, v21, v222                              // 000000009008: 0BBDBD15
	v_mul_f32_e32 v223, v21, v223                              // 00000000900C: 0BBFBF15
	v_cvt_f32_i32_e32 v224, v224                               // 000000009010: 7FC00BE0
	v_cvt_f32_i32_e32 v225, v225                               // 000000009014: 7FC20BE1
	v_cvt_f32_i32_e32 v226, v226                               // 000000009018: 7FC40BE2
	v_cvt_f32_i32_e32 v227, v227                               // 00000000901C: 7FC60BE3
	v_mul_f32_e32 v224, v24, v224                              // 000000009020: 0BC1C118
	v_mul_f32_e32 v225, v24, v225                              // 000000009024: 0BC3C318
	v_mul_f32_e32 v226, v24, v226                              // 000000009028: 0BC5C518
	v_mul_f32_e32 v227, v24, v227                              // 00000000902C: 0BC7C718
	v_mul_f32_dpp v224, v13, v224 row_newbcast:8 row_mask:0xf bank_mask:0xf// 000000009030: 0BC1C0FA FF01580D
	v_mul_f32_dpp v225, v13, v225 row_newbcast:9 row_mask:0xf bank_mask:0xf// 000000009038: 0BC3C2FA FF01590D
	v_mul_f32_dpp v226, v13, v226 row_newbcast:10 row_mask:0xf bank_mask:0xf// 000000009040: 0BC5C4FA FF015A0D
	v_mul_f32_dpp v227, v13, v227 row_newbcast:11 row_mask:0xf bank_mask:0xf// 000000009048: 0BC7C6FA FF015B0D
	v_mul_f32_e32 v224, v20, v224                              // 000000009050: 0BC1C114
	v_mul_f32_e32 v225, v20, v225                              // 000000009054: 0BC3C314
	v_mul_f32_e32 v226, v20, v226                              // 000000009058: 0BC5C514
	v_mul_f32_e32 v227, v20, v227                              // 00000000905C: 0BC7C714
	v_cvt_f32_i32_e32 v228, v228                               // 000000009060: 7FC80BE4
	v_cvt_f32_i32_e32 v229, v229                               // 000000009064: 7FCA0BE5
	v_cvt_f32_i32_e32 v230, v230                               // 000000009068: 7FCC0BE6
	v_cvt_f32_i32_e32 v231, v231                               // 00000000906C: 7FCE0BE7
	v_mul_f32_e32 v228, v25, v228                              // 000000009070: 0BC9C919
	v_mul_f32_e32 v229, v25, v229                              // 000000009074: 0BCBCB19
	v_mul_f32_e32 v230, v25, v230                              // 000000009078: 0BCDCD19
	v_mul_f32_e32 v231, v25, v231                              // 00000000907C: 0BCFCF19
	v_mul_f32_dpp v228, v13, v228 row_newbcast:8 row_mask:0xf bank_mask:0xf// 000000009080: 0BC9C8FA FF01580D
	v_mul_f32_dpp v229, v13, v229 row_newbcast:9 row_mask:0xf bank_mask:0xf// 000000009088: 0BCBCAFA FF01590D
	v_mul_f32_dpp v230, v13, v230 row_newbcast:10 row_mask:0xf bank_mask:0xf// 000000009090: 0BCDCCFA FF015A0D
	v_mul_f32_dpp v231, v13, v231 row_newbcast:11 row_mask:0xf bank_mask:0xf// 000000009098: 0BCFCEFA FF015B0D
	v_mul_f32_e32 v228, v21, v228                              // 0000000090A0: 0BC9C915
	v_mul_f32_e32 v229, v21, v229                              // 0000000090A4: 0BCBCB15
	v_mul_f32_e32 v230, v21, v230                              // 0000000090A8: 0BCDCD15
	v_mul_f32_e32 v231, v21, v231                              // 0000000090AC: 0BCFCF15
	v_cvt_f32_i32_e32 v232, v232                               // 0000000090B0: 7FD00BE8
	v_cvt_f32_i32_e32 v233, v233                               // 0000000090B4: 7FD20BE9
	v_cvt_f32_i32_e32 v234, v234                               // 0000000090B8: 7FD40BEA
	v_cvt_f32_i32_e32 v235, v235                               // 0000000090BC: 7FD60BEB
	v_mul_f32_e32 v232, v24, v232                              // 0000000090C0: 0BD1D118
	v_mul_f32_e32 v233, v24, v233                              // 0000000090C4: 0BD3D318
	v_mul_f32_e32 v234, v24, v234                              // 0000000090C8: 0BD5D518
	v_mul_f32_e32 v235, v24, v235                              // 0000000090CC: 0BD7D718
	v_mul_f32_dpp v232, v13, v232 row_newbcast:12 row_mask:0xf bank_mask:0xf// 0000000090D0: 0BD1D0FA FF015C0D
	v_mul_f32_dpp v233, v13, v233 row_newbcast:13 row_mask:0xf bank_mask:0xf// 0000000090D8: 0BD3D2FA FF015D0D
	v_mul_f32_dpp v234, v13, v234 row_newbcast:14 row_mask:0xf bank_mask:0xf// 0000000090E0: 0BD5D4FA FF015E0D
	v_mul_f32_dpp v235, v13, v235 row_newbcast:15 row_mask:0xf bank_mask:0xf// 0000000090E8: 0BD7D6FA FF015F0D
	v_mul_f32_e32 v232, v20, v232                              // 0000000090F0: 0BD1D114
	v_mul_f32_e32 v233, v20, v233                              // 0000000090F4: 0BD3D314
	v_mul_f32_e32 v234, v20, v234                              // 0000000090F8: 0BD5D514
	v_mul_f32_e32 v235, v20, v235                              // 0000000090FC: 0BD7D714
	v_cvt_f32_i32_e32 v236, v236                               // 000000009100: 7FD80BEC
	v_cvt_f32_i32_e32 v237, v237                               // 000000009104: 7FDA0BED
	v_cvt_f32_i32_e32 v238, v238                               // 000000009108: 7FDC0BEE
	v_cvt_f32_i32_e32 v239, v239                               // 00000000910C: 7FDE0BEF
	v_mul_f32_e32 v236, v25, v236                              // 000000009110: 0BD9D919
	v_mul_f32_e32 v237, v25, v237                              // 000000009114: 0BDBDB19
	v_mul_f32_e32 v238, v25, v238                              // 000000009118: 0BDDDD19
	v_mul_f32_e32 v239, v25, v239                              // 00000000911C: 0BDFDF19
	v_mul_f32_dpp v236, v13, v236 row_newbcast:12 row_mask:0xf bank_mask:0xf// 000000009120: 0BD9D8FA FF015C0D
	v_mul_f32_dpp v237, v13, v237 row_newbcast:13 row_mask:0xf bank_mask:0xf// 000000009128: 0BDBDAFA FF015D0D
	v_mul_f32_dpp v238, v13, v238 row_newbcast:14 row_mask:0xf bank_mask:0xf// 000000009130: 0BDDDCFA FF015E0D
	v_mul_f32_dpp v239, v13, v239 row_newbcast:15 row_mask:0xf bank_mask:0xf// 000000009138: 0BDFDEFA FF015F0D
	v_mul_f32_e32 v236, v21, v236                              // 000000009140: 0BD9D915
	v_mul_f32_e32 v237, v21, v237                              // 000000009144: 0BDBDB15
	v_mul_f32_e32 v238, v21, v238                              // 000000009148: 0BDDDD15
	v_mul_f32_e32 v239, v21, v239                              // 00000000914C: 0BDFDF15
	v_cvt_pkrtz_f16_f32 v208, v208, v209                       // 000000009150: D29600D0 0003A3D0
	v_cvt_pkrtz_f16_f32 v209, v210, v211                       // 000000009158: D29600D1 0003A7D2
	v_cvt_pkrtz_f16_f32 v210, v212, v213                       // 000000009160: D29600D2 0003ABD4
	v_cvt_pkrtz_f16_f32 v211, v214, v215                       // 000000009168: D29600D3 0003AFD6
	v_cvt_pkrtz_f16_f32 v212, v216, v217                       // 000000009170: D29600D4 0003B3D8
	v_cvt_pkrtz_f16_f32 v213, v218, v219                       // 000000009178: D29600D5 0003B7DA
	v_cvt_pkrtz_f16_f32 v214, v220, v221                       // 000000009180: D29600D6 0003BBDC
	v_cvt_pkrtz_f16_f32 v215, v222, v223                       // 000000009188: D29600D7 0003BFDE
	v_cvt_pkrtz_f16_f32 v216, v224, v225                       // 000000009190: D29600D8 0003C3E0
	v_cvt_pkrtz_f16_f32 v217, v226, v227                       // 000000009198: D29600D9 0003C7E2
	v_cvt_pkrtz_f16_f32 v218, v228, v229                       // 0000000091A0: D29600DA 0003CBE4
	v_cvt_pkrtz_f16_f32 v219, v230, v231                       // 0000000091A8: D29600DB 0003CFE6
	v_cvt_pkrtz_f16_f32 v220, v232, v233                       // 0000000091B0: D29600DC 0003D3E8
	v_cvt_pkrtz_f16_f32 v221, v234, v235                       // 0000000091B8: D29600DD 0003D7EA
	v_cvt_pkrtz_f16_f32 v222, v236, v237                       // 0000000091C0: D29600DE 0003DBEC
	v_cvt_pkrtz_f16_f32 v223, v238, v239                       // 0000000091C8: D29600DF 0003DFEE
	ds_write_b64 v3, v[208:209] offset:30976                   // 0000000091D0: D89A7900 0000D003
	ds_write_b64 v3, v[210:211] offset:39680                   // 0000000091D8: D89A9B00 0000D203
	ds_write_b64 v3, v[212:213] offset:33152                   // 0000000091E0: D89A8180 0000D403
	ds_write_b64 v3, v[214:215] offset:41856                   // 0000000091E8: D89AA380 0000D603
	ds_write_b64 v3, v[216:217] offset:35328                   // 0000000091F0: D89A8A00 0000D803
	ds_write_b64 v3, v[218:219] offset:44032                   // 0000000091F8: D89AAC00 0000DA03
	ds_write_b64 v3, v[220:221] offset:37504                   // 000000009200: D89A9280 0000DC03
	ds_write_b64 v3, v[222:223] offset:46208                   // 000000009208: D89AB480 0000DE03
	s_waitcnt lgkmcnt(0)                                       // 000000009210: BF8CC07F
	s_barrier                                                  // 000000009214: BF8A0000
	ds_read_b32 v64, v4 offset:30976                           // 000000009218: D86C7900 40000004
	ds_read_b32 v65, v4 offset:35328                           // 000000009220: D86C8A00 41000004
	ds_read_b32 v66, v4 offset:31008                           // 000000009228: D86C7920 42000004
	ds_read_b32 v67, v4 offset:35360                           // 000000009230: D86C8A20 43000004
	ds_read_b32 v68, v4 offset:31040                           // 000000009238: D86C7940 44000004
	ds_read_b32 v69, v4 offset:35392                           // 000000009240: D86C8A40 45000004
	ds_read_b32 v70, v4 offset:31072                           // 000000009248: D86C7960 46000004
	ds_read_b32 v71, v4 offset:35424                           // 000000009250: D86C8A60 47000004
	ds_read_b32 v72, v4 offset:39680                           // 000000009258: D86C9B00 48000004
	ds_read_b32 v73, v4 offset:44032                           // 000000009260: D86CAC00 49000004
	ds_read_b32 v74, v4 offset:39712                           // 000000009268: D86C9B20 4A000004
	ds_read_b32 v75, v4 offset:44064                           // 000000009270: D86CAC20 4B000004
	ds_read_b32 v76, v4 offset:39744                           // 000000009278: D86C9B40 4C000004
	ds_read_b32 v77, v4 offset:44096                           // 000000009280: D86CAC40 4D000004
	ds_read_b32 v78, v4 offset:39776                           // 000000009288: D86C9B60 4E000004
	ds_read_b32 v79, v4 offset:44128                           // 000000009290: D86CAC60 4F000004
	s_waitcnt lgkmcnt(0)                                       // 000000009298: BF8CC07F
	s_mov_b64 exec, s[20:21]                                   // 00000000929C: BEFE0114
	global_atomic_pk_add_f16 v80, v64, s[8:9]                  // 0000000092A0: DD388000 00084050
	s_mov_b64 exec, s[36:37]                                   // 0000000092A8: BEFE0124
	s_mov_b64 exec, s[20:21]                                   // 0000000092AC: BEFE0114
	global_atomic_pk_add_f16 v80, v65, s[8:9] offset:256       // 0000000092B0: DD388100 00084150
	s_mov_b64 exec, s[36:37]                                   // 0000000092B8: BEFE0124
	s_mov_b64 exec, s[22:23]                                   // 0000000092BC: BEFE0116
	global_atomic_pk_add_f16 v82, v66, s[8:9]                  // 0000000092C0: DD388000 00084252
	s_mov_b64 exec, s[36:37]                                   // 0000000092C8: BEFE0124
	s_mov_b64 exec, s[22:23]                                   // 0000000092CC: BEFE0116
	global_atomic_pk_add_f16 v82, v67, s[8:9] offset:256       // 0000000092D0: DD388100 00084352
	s_mov_b64 exec, s[36:37]                                   // 0000000092D8: BEFE0124
	s_mov_b64 exec, s[24:25]                                   // 0000000092DC: BEFE0118
	global_atomic_pk_add_f16 v84, v68, s[8:9]                  // 0000000092E0: DD388000 00084454
	s_mov_b64 exec, s[36:37]                                   // 0000000092E8: BEFE0124
	s_mov_b64 exec, s[24:25]                                   // 0000000092EC: BEFE0118
	global_atomic_pk_add_f16 v84, v69, s[8:9] offset:256       // 0000000092F0: DD388100 00084554
	s_mov_b64 exec, s[36:37]                                   // 0000000092F8: BEFE0124
	s_mov_b64 exec, s[26:27]                                   // 0000000092FC: BEFE011A
	global_atomic_pk_add_f16 v86, v70, s[8:9]                  // 000000009300: DD388000 00084656
	s_mov_b64 exec, s[36:37]                                   // 000000009308: BEFE0124
	s_mov_b64 exec, s[26:27]                                   // 00000000930C: BEFE011A
	global_atomic_pk_add_f16 v86, v71, s[8:9] offset:256       // 000000009310: DD388100 00084756
	s_mov_b64 exec, s[36:37]                                   // 000000009318: BEFE0124
	s_mov_b64 exec, s[28:29]                                   // 00000000931C: BEFE011C
	global_atomic_pk_add_f16 v88, v72, s[8:9]                  // 000000009320: DD388000 00084858
	s_mov_b64 exec, s[36:37]                                   // 000000009328: BEFE0124
	s_mov_b64 exec, s[28:29]                                   // 00000000932C: BEFE011C
	global_atomic_pk_add_f16 v88, v73, s[8:9] offset:256       // 000000009330: DD388100 00084958
	s_mov_b64 exec, s[36:37]                                   // 000000009338: BEFE0124
	s_mov_b64 exec, s[30:31]                                   // 00000000933C: BEFE011E
	global_atomic_pk_add_f16 v90, v74, s[8:9]                  // 000000009340: DD388000 00084A5A
	s_mov_b64 exec, s[36:37]                                   // 000000009348: BEFE0124
	s_mov_b64 exec, s[30:31]                                   // 00000000934C: BEFE011E
	global_atomic_pk_add_f16 v90, v75, s[8:9] offset:256       // 000000009350: DD388100 00084B5A
	s_mov_b64 exec, s[36:37]                                   // 000000009358: BEFE0124
	s_mov_b64 exec, s[32:33]                                   // 00000000935C: BEFE0120
	global_atomic_pk_add_f16 v92, v76, s[8:9]                  // 000000009360: DD388000 00084C5C
	s_mov_b64 exec, s[36:37]                                   // 000000009368: BEFE0124
	s_mov_b64 exec, s[32:33]                                   // 00000000936C: BEFE0120
	global_atomic_pk_add_f16 v92, v77, s[8:9] offset:256       // 000000009370: DD388100 00084D5C
	s_mov_b64 exec, s[36:37]                                   // 000000009378: BEFE0124
	s_mov_b64 exec, s[34:35]                                   // 00000000937C: BEFE0122
	global_atomic_pk_add_f16 v94, v78, s[8:9]                  // 000000009380: DD388000 00084E5E
	s_mov_b64 exec, s[36:37]                                   // 000000009388: BEFE0124
	s_mov_b64 exec, s[34:35]                                   // 00000000938C: BEFE0122
	global_atomic_pk_add_f16 v94, v79, s[8:9] offset:256       // 000000009390: DD388100 00084F5E
	s_mov_b64 exec, s[36:37]                                   // 000000009398: BEFE0124
	s_add_u32 s8, s59, s8                                      // 00000000939C: 8008083B
	s_addc_u32 s9, 0, s9                                       // 0000000093A0: 82090980
	s_addk_i32 s80, 0x100                                      // 0000000093A4: B7500100
	s_cmp_lt_i32 s80, s81                                      // 0000000093A8: BF045150
	s_cbranch_scc0 label_0E1F                                  // 0000000093AC: BF84F4B3
	s_branch label_14E2                                        // 0000000093B0: BF82FB75

00000000000093b4 <label_196D>:
	s_waitcnt vmcnt(0) expcnt(0) lgkmcnt(0)                    // 0000000093B4: BF8C0000
	s_add_u32 s100, s100, 1                                    // 0000000093B8: 80648164
	s_cmp_eq_u32 s96, 0                                        // 0000000093BC: BF068060
	s_cbranch_scc0 label_0039                                  // 0000000093C0: BF84E6C8

00000000000093c4 <label_1971>:
	s_waitcnt vmcnt(0) expcnt(0) lgkmcnt(0)                    // 0000000093C4: BF8C0000
	s_endpgm                                                   // 0000000093C8: BF810000
